;; amdgpu-corpus repo=ROCm/rocFFT kind=compiled arch=gfx1030 opt=O3
	.text
	.amdgcn_target "amdgcn-amd-amdhsa--gfx1030"
	.amdhsa_code_object_version 6
	.protected	bluestein_single_back_len1715_dim1_half_op_CI_CI ; -- Begin function bluestein_single_back_len1715_dim1_half_op_CI_CI
	.globl	bluestein_single_back_len1715_dim1_half_op_CI_CI
	.p2align	8
	.type	bluestein_single_back_len1715_dim1_half_op_CI_CI,@function
bluestein_single_back_len1715_dim1_half_op_CI_CI: ; @bluestein_single_back_len1715_dim1_half_op_CI_CI
; %bb.0:
	s_load_dwordx4 s[12:15], s[4:5], 0x28
	v_mul_u32_u24_e32 v1, 0x10c, v0
	v_mov_b32_e32 v19, 0
	s_mov_b32 s0, exec_lo
	v_lshrrev_b32_e32 v1, 16, v1
	v_add_nc_u32_e32 v18, s6, v1
	s_waitcnt lgkmcnt(0)
	v_cmpx_gt_u64_e64 s[12:13], v[18:19]
	s_cbranch_execz .LBB0_15
; %bb.1:
	s_clause 0x1
	s_load_dwordx4 s[8:11], s[4:5], 0x18
	s_load_dwordx2 s[6:7], s[4:5], 0x0
	v_mul_lo_u16 v1, 0xf5, v1
	v_sub_nc_u16 v7, v0, v1
	v_and_b32_e32 v31, 0xffff, v7
	v_lshlrev_b32_e32 v29, 2, v31
	s_waitcnt lgkmcnt(0)
	s_load_dwordx4 s[0:3], s[8:9], 0x0
	s_waitcnt lgkmcnt(0)
	v_mad_u64_u32 v[0:1], null, s2, v18, 0
	v_mad_u64_u32 v[2:3], null, s0, v31, 0
	v_add_co_u32 v16, s2, s6, v29
	v_add_co_ci_u32_e64 v17, null, s7, 0, s2
	s_mul_i32 s2, s0, 0x157
	v_add_co_u32 v14, vcc_lo, 0x800, v16
	v_mad_u64_u32 v[4:5], null, s3, v18, v[1:2]
	v_add_co_ci_u32_e32 v15, vcc_lo, 0, v17, vcc_lo
	s_clause 0x2
	global_load_dword v35, v29, s[6:7]
	global_load_dword v34, v29, s[6:7] offset:1372
	global_load_dword v33, v[14:15], off offset:696
	s_mul_i32 s3, s1, 0x157
	s_mul_hi_u32 s6, s0, 0x157
	v_mad_u64_u32 v[5:6], null, s1, v31, v[3:4]
	v_mov_b32_e32 v1, v4
	s_add_i32 s3, s6, s3
	s_load_dwordx2 s[6:7], s[4:5], 0x38
	s_lshl_b64 s[2:3], s[2:3], 2
	v_lshlrev_b64 v[0:1], 2, v[0:1]
	v_mov_b32_e32 v3, v5
	v_add_co_u32 v0, vcc_lo, s14, v0
	v_lshlrev_b64 v[2:3], 2, v[2:3]
	v_add_co_ci_u32_e32 v1, vcc_lo, s15, v1, vcc_lo
	v_add_co_u32 v0, vcc_lo, v0, v2
	v_add_co_ci_u32_e32 v1, vcc_lo, v1, v3, vcc_lo
	v_add_co_u32 v2, vcc_lo, v0, s2
	v_add_co_ci_u32_e32 v3, vcc_lo, s3, v1, vcc_lo
	s_clause 0x1
	global_load_dword v4, v[0:1], off
	global_load_dword v5, v[2:3], off
	v_add_co_u32 v0, vcc_lo, v2, s2
	v_add_co_ci_u32_e32 v1, vcc_lo, s3, v3, vcc_lo
	v_add_co_u32 v2, vcc_lo, v0, s2
	v_add_co_ci_u32_e32 v3, vcc_lo, s3, v1, vcc_lo
	global_load_dword v6, v[0:1], off
	v_add_co_u32 v0, vcc_lo, v2, s2
	v_add_co_ci_u32_e32 v1, vcc_lo, s3, v3, vcc_lo
	v_add_co_u32 v12, vcc_lo, 0x1000, v16
	v_add_co_ci_u32_e32 v13, vcc_lo, 0, v17, vcc_lo
	s_clause 0x1
	global_load_dword v2, v[2:3], off
	global_load_dword v3, v[0:1], off
	s_clause 0x1
	global_load_dword v32, v[12:13], off offset:20
	global_load_dword v30, v[12:13], off offset:1392
	s_load_dwordx4 s[8:11], s[10:11], 0x0
	v_cmp_gt_u16_e32 vcc_lo, 0x62, v7
	s_waitcnt vmcnt(6)
	v_lshrrev_b32_e32 v8, 16, v4
	v_mul_f16_sdwa v9, v35, v4 dst_sel:DWORD dst_unused:UNUSED_PAD src0_sel:WORD_1 src1_sel:DWORD
	s_waitcnt vmcnt(5)
	v_lshrrev_b32_e32 v11, 16, v5
	v_mul_f16_sdwa v19, v34, v5 dst_sel:DWORD dst_unused:UNUSED_PAD src0_sel:WORD_1 src1_sel:DWORD
	v_mul_f16_sdwa v10, v35, v8 dst_sel:DWORD dst_unused:UNUSED_PAD src0_sel:WORD_1 src1_sel:DWORD
	v_fma_f16 v8, v35, v8, -v9
	v_fma_f16 v9, v34, v11, -v19
	v_fmac_f16_e32 v10, v35, v4
	v_mul_f16_sdwa v4, v34, v11 dst_sel:DWORD dst_unused:UNUSED_PAD src0_sel:WORD_1 src1_sel:DWORD
	s_waitcnt vmcnt(4)
	v_lshrrev_b32_e32 v11, 16, v6
	v_mul_f16_sdwa v19, v33, v6 dst_sel:DWORD dst_unused:UNUSED_PAD src0_sel:WORD_1 src1_sel:DWORD
	v_pack_b32_f16 v8, v10, v8
	v_fmac_f16_e32 v4, v34, v5
	v_mul_f16_sdwa v20, v33, v11 dst_sel:DWORD dst_unused:UNUSED_PAD src0_sel:WORD_1 src1_sel:DWORD
	v_fma_f16 v11, v33, v11, -v19
	s_waitcnt vmcnt(3)
	v_lshrrev_b32_e32 v5, 16, v2
	s_waitcnt vmcnt(2)
	v_lshrrev_b32_e32 v10, 16, v3
	s_waitcnt vmcnt(1)
	v_mul_f16_sdwa v19, v32, v2 dst_sel:DWORD dst_unused:UNUSED_PAD src0_sel:WORD_1 src1_sel:DWORD
	s_waitcnt vmcnt(0)
	v_mul_f16_sdwa v23, v30, v3 dst_sel:DWORD dst_unused:UNUSED_PAD src0_sel:WORD_1 src1_sel:DWORD
	v_fmac_f16_e32 v20, v33, v6
	v_mul_f16_sdwa v21, v32, v5 dst_sel:DWORD dst_unused:UNUSED_PAD src0_sel:WORD_1 src1_sel:DWORD
	v_mul_f16_sdwa v22, v30, v10 dst_sel:DWORD dst_unused:UNUSED_PAD src0_sel:WORD_1 src1_sel:DWORD
	v_fma_f16 v5, v32, v5, -v19
	ds_write_b32 v29, v8
	v_fmac_f16_e32 v21, v32, v2
	v_fmac_f16_e32 v22, v30, v3
	v_fma_f16 v2, v30, v10, -v23
	v_pack_b32_f16 v3, v4, v9
	v_pack_b32_f16 v4, v20, v11
	;; [unrolled: 1-line block ×4, first 2 shown]
	ds_write_b32 v29, v3 offset:1372
	ds_write_b32 v29, v4 offset:2744
	;; [unrolled: 1-line block ×4, first 2 shown]
	s_and_saveexec_b32 s12, vcc_lo
	s_cbranch_execz .LBB0_3
; %bb.2:
	v_mad_u64_u32 v[0:1], null, 0xffffee64, s0, v[0:1]
	s_mulk_i32 s1, 0xee64
	global_load_dword v6, v[16:17], off offset:980
	s_sub_i32 s0, s1, s0
	s_clause 0x1
	global_load_dword v7, v[14:15], off offset:304
	global_load_dword v8, v[14:15], off offset:1676
	v_add_nc_u32_e32 v1, s0, v1
	v_add_co_u32 v2, s0, v0, s2
	v_add_co_ci_u32_e64 v3, s0, s3, v1, s0
	global_load_dword v9, v[0:1], off
	v_add_co_u32 v0, s0, v2, s2
	v_add_co_ci_u32_e64 v1, s0, s3, v3, s0
	global_load_dword v10, v[2:3], off
	;; [unrolled: 3-line block ×3, first 2 shown]
	v_add_co_u32 v0, s0, v2, s2
	v_add_co_ci_u32_e64 v1, s0, s3, v3, s0
	v_add_co_u32 v4, s0, 0x1800, v16
	v_add_co_ci_u32_e64 v5, s0, 0, v17, s0
	global_load_dword v2, v[2:3], off
	global_load_dword v0, v[0:1], off
	s_clause 0x1
	global_load_dword v1, v[12:13], off offset:1000
	global_load_dword v3, v[4:5], off offset:324
	s_waitcnt vmcnt(6)
	v_lshrrev_b32_e32 v4, 16, v9
	v_mul_f16_sdwa v5, v6, v9 dst_sel:DWORD dst_unused:UNUSED_PAD src0_sel:WORD_1 src1_sel:DWORD
	s_waitcnt vmcnt(5)
	v_lshrrev_b32_e32 v19, 16, v10
	v_mul_f16_sdwa v20, v6, v4 dst_sel:DWORD dst_unused:UNUSED_PAD src0_sel:WORD_1 src1_sel:DWORD
	v_mul_f16_sdwa v21, v7, v10 dst_sel:DWORD dst_unused:UNUSED_PAD src0_sel:WORD_1 src1_sel:DWORD
	v_fma_f16 v4, v6, v4, -v5
	v_mul_f16_sdwa v5, v7, v19 dst_sel:DWORD dst_unused:UNUSED_PAD src0_sel:WORD_1 src1_sel:DWORD
	v_fmac_f16_e32 v20, v6, v9
	s_waitcnt vmcnt(4)
	v_lshrrev_b32_e32 v9, 16, v11
	v_fma_f16 v6, v7, v19, -v21
	v_mul_f16_sdwa v19, v8, v11 dst_sel:DWORD dst_unused:UNUSED_PAD src0_sel:WORD_1 src1_sel:DWORD
	v_fmac_f16_e32 v5, v7, v10
	s_waitcnt vmcnt(3)
	v_lshrrev_b32_e32 v7, 16, v2
	s_waitcnt vmcnt(2)
	v_lshrrev_b32_e32 v10, 16, v0
	v_mul_f16_sdwa v21, v8, v9 dst_sel:DWORD dst_unused:UNUSED_PAD src0_sel:WORD_1 src1_sel:DWORD
	v_fma_f16 v9, v8, v9, -v19
	s_waitcnt vmcnt(1)
	v_mul_f16_sdwa v19, v1, v2 dst_sel:DWORD dst_unused:UNUSED_PAD src0_sel:WORD_1 src1_sel:DWORD
	v_mul_f16_sdwa v22, v1, v7 dst_sel:DWORD dst_unused:UNUSED_PAD src0_sel:WORD_1 src1_sel:DWORD
	s_waitcnt vmcnt(0)
	v_mul_f16_sdwa v23, v3, v10 dst_sel:DWORD dst_unused:UNUSED_PAD src0_sel:WORD_1 src1_sel:DWORD
	v_mul_f16_sdwa v24, v3, v0 dst_sel:DWORD dst_unused:UNUSED_PAD src0_sel:WORD_1 src1_sel:DWORD
	v_fmac_f16_e32 v21, v8, v11
	v_fma_f16 v7, v1, v7, -v19
	v_fmac_f16_e32 v22, v1, v2
	v_fmac_f16_e32 v23, v3, v0
	v_fma_f16 v0, v3, v10, -v24
	v_pack_b32_f16 v1, v20, v4
	v_pack_b32_f16 v2, v5, v6
	;; [unrolled: 1-line block ×5, first 2 shown]
	ds_write_b32 v29, v1 offset:980
	ds_write_b32 v29, v2 offset:2352
	ds_write_b32 v29, v3 offset:3724
	ds_write_b32 v29, v4 offset:5096
	ds_write_b32 v29, v0 offset:6468
.LBB0_3:
	s_or_b32 exec_lo, exec_lo, s12
	s_waitcnt lgkmcnt(0)
	s_barrier
	buffer_gl0_inv
	ds_read_b32 v10, v29
	ds_read_b32 v7, v29 offset:1372
	ds_read_b32 v8, v29 offset:2744
	;; [unrolled: 1-line block ×4, first 2 shown]
	s_load_dwordx2 s[0:1], s[4:5], 0x8
                                        ; implicit-def: $vgpr2
                                        ; implicit-def: $vgpr3
                                        ; implicit-def: $vgpr1
                                        ; implicit-def: $vgpr0
                                        ; implicit-def: $vgpr4
	s_and_saveexec_b32 s2, vcc_lo
	s_cbranch_execz .LBB0_5
; %bb.4:
	ds_read_b32 v4, v29 offset:980
	ds_read_b32 v3, v29 offset:2352
	;; [unrolled: 1-line block ×5, first 2 shown]
.LBB0_5:
	s_or_b32 exec_lo, exec_lo, s2
	s_waitcnt lgkmcnt(0)
	v_pk_add_f16 v9, v2, v1
	v_pk_add_f16 v11, v3, v0
	v_pk_add_f16 v20, v3, v0 neg_lo:[0,1] neg_hi:[0,1]
	v_pk_add_f16 v22, v3, v2 neg_lo:[0,1] neg_hi:[0,1]
	;; [unrolled: 1-line block ×3, first 2 shown]
	v_pk_fma_f16 v19, v9, 0.5, v4 op_sel_hi:[1,0,1] neg_lo:[1,0,0] neg_hi:[1,0,0]
	v_pk_add_f16 v9, v2, v1 neg_lo:[0,1] neg_hi:[0,1]
	v_pk_fma_f16 v21, v11, 0.5, v4 op_sel_hi:[1,0,1] neg_lo:[1,0,0] neg_hi:[1,0,0]
	v_pk_add_f16 v25, v2, v3 neg_lo:[0,1] neg_hi:[0,1]
	v_pk_add_f16 v28, v1, v0 neg_lo:[0,1] neg_hi:[0,1]
	v_pk_fma_f16 v11, 0x3b9c, v20, v19 op_sel:[0,1,0] op_sel_hi:[0,0,1] neg_lo:[0,1,0] neg_hi:[0,1,0]
	v_pk_fma_f16 v19, 0x3b9c, v20, v19 op_sel:[0,1,0] op_sel_hi:[0,0,1]
	v_pk_fma_f16 v24, 0x3b9c, v9, v21 op_sel:[0,1,0] op_sel_hi:[0,0,1] neg_lo:[0,1,0] neg_hi:[0,1,0]
	v_pk_fma_f16 v21, 0x3b9c, v9, v21 op_sel:[0,1,0] op_sel_hi:[0,0,1]
	v_pk_add_f16 v25, v25, v28
	v_pk_fma_f16 v26, 0x38b4, v9, v11 op_sel:[0,1,0] op_sel_hi:[0,0,1] neg_lo:[0,1,0] neg_hi:[0,1,0]
	v_pk_fma_f16 v27, 0x38b4, v9, v19 op_sel:[0,1,0] op_sel_hi:[0,0,1]
	v_pk_fma_f16 v24, 0x38b4, v20, v24 op_sel:[0,1,0] op_sel_hi:[0,0,1]
	v_pk_fma_f16 v21, 0x38b4, v20, v21 op_sel:[0,1,0] op_sel_hi:[0,0,1] neg_lo:[0,1,0] neg_hi:[0,1,0]
	v_pk_add_f16 v20, v22, v23
	v_pk_add_f16 v40, v7, v8 neg_lo:[0,1] neg_hi:[0,1]
	v_bfi_b32 v22, 0xffff, v26, v27
	v_pk_add_f16 v27, v7, v5
	v_bfi_b32 v23, 0xffff, v24, v21
	v_bfi_b32 v21, 0xffff, v21, v24
	v_pk_add_f16 v26, v10, v7
	v_pk_fma_f16 v36, 0x34f2, v20, v22 op_sel_hi:[0,1,1]
	v_mov_b32_e32 v22, 2
	v_pk_fma_f16 v38, 0x34f2, v25, v23 op_sel_hi:[0,1,1]
	v_pk_fma_f16 v37, 0x34f2, v25, v21 op_sel_hi:[0,1,1]
	v_mul_lo_u16 v21, v31, 5
	v_pk_add_f16 v23, v8, v6
	v_pk_add_f16 v25, v7, v5 neg_lo:[0,1] neg_hi:[0,1]
	v_pk_add_f16 v26, v26, v8
	v_pk_add_f16 v7, v8, v7 neg_lo:[0,1] neg_hi:[0,1]
	v_lshlrev_b32_sdwa v39, v22, v21 dst_sel:DWORD dst_unused:UNUSED_PAD src0_sel:DWORD src1_sel:WORD_0
	v_pk_add_f16 v21, v8, v6 neg_lo:[0,1] neg_hi:[0,1]
	v_pk_fma_f16 v22, v23, 0.5, v10 op_sel_hi:[1,0,1] neg_lo:[1,0,0] neg_hi:[1,0,0]
	v_pk_mul_f16 v23, 0x3b9c, v25 op_sel_hi:[0,1]
	v_pk_fma_f16 v10, v27, 0.5, v10 op_sel_hi:[1,0,1] neg_lo:[1,0,0] neg_hi:[1,0,0]
	v_pk_mul_f16 v25, 0x38b4, v25 op_sel_hi:[0,1]
	v_pk_mul_f16 v28, 0x38b4, v21 op_sel_hi:[0,1]
	;; [unrolled: 1-line block ×3, first 2 shown]
	v_pk_add_f16 v41, v22, v23 op_sel:[0,1] op_sel_hi:[1,0]
	v_pk_add_f16 v22, v22, v23 op_sel:[0,1] op_sel_hi:[1,0] neg_lo:[0,1] neg_hi:[0,1]
	v_pk_add_f16 v27, v5, v6 neg_lo:[0,1] neg_hi:[0,1]
	v_pk_add_f16 v8, v6, v5 neg_lo:[0,1] neg_hi:[0,1]
	v_add_co_u32 v24, null, 0xf5, v31
	v_pk_add_f16 v23, v41, v28 op_sel:[0,1] op_sel_hi:[1,0]
	v_pk_add_f16 v41, v10, v21 op_sel:[0,1] op_sel_hi:[1,0] neg_lo:[0,1] neg_hi:[0,1]
	v_pk_add_f16 v10, v10, v21 op_sel:[0,1] op_sel_hi:[1,0]
	v_pk_add_f16 v21, v22, v28 op_sel:[0,1] op_sel_hi:[1,0] neg_lo:[0,1] neg_hi:[0,1]
	v_pk_add_f16 v6, v26, v6
	v_pk_add_f16 v7, v7, v8
	v_pk_add_f16 v22, v41, v25 op_sel:[0,1] op_sel_hi:[1,0]
	v_pk_add_f16 v10, v10, v25 op_sel:[0,1] op_sel_hi:[1,0] neg_lo:[0,1] neg_hi:[0,1]
	v_pk_add_f16 v25, v40, v27
	v_bfi_b32 v26, 0xffff, v23, v21
	v_bfi_b32 v21, 0xffff, v21, v23
	v_pk_add_f16 v5, v6, v5
	v_bfi_b32 v8, 0xffff, v22, v10
	v_bfi_b32 v10, 0xffff, v10, v22
	v_pk_fma_f16 v6, 0x34f2, v25, v26 op_sel_hi:[0,1,1]
	v_mul_u32_u24_e32 v41, 5, v24
	v_pk_fma_f16 v8, 0x34f2, v7, v8 op_sel_hi:[0,1,1]
	v_pk_fma_f16 v7, 0x34f2, v7, v10 op_sel_hi:[0,1,1]
	;; [unrolled: 1-line block ×3, first 2 shown]
	s_barrier
	buffer_gl0_inv
	ds_write2_b32 v39, v5, v6 offset1:1
	ds_write2_b32 v39, v8, v7 offset0:2 offset1:3
	ds_write_b32 v39, v10 offset:16
	s_and_saveexec_b32 s2, vcc_lo
	s_cbranch_execz .LBB0_7
; %bb.6:
	v_pk_add_f16 v3, v4, v3
	v_pk_mul_f16 v4, 0x38b4, v9 op_sel:[0,1] op_sel_hi:[0,0]
	v_pk_mul_f16 v5, 0x34f2, v20 op_sel_hi:[0,1]
	v_pk_add_f16 v2, v3, v2
	v_pk_add_f16 v3, v19, v4
	v_pk_add_f16 v4, v11, v4 neg_lo:[0,1] neg_hi:[0,1]
	v_pk_add_f16 v1, v2, v1
	v_bfi_b32 v2, 0xffff, v3, v4
	v_lshlrev_b32_e32 v3, 2, v41
	v_pk_add_f16 v0, v1, v0
	v_pk_add_f16 v1, v5, v2
	ds_write2_b32 v3, v38, v37 offset0:2 offset1:3
	ds_write2_b32 v3, v0, v1 offset1:1
	ds_write_b32 v3, v36 offset:16
.LBB0_7:
	s_or_b32 exec_lo, exec_lo, s2
	v_and_b32_e32 v8, 0xff, v31
	s_waitcnt lgkmcnt(0)
	s_barrier
	buffer_gl0_inv
	v_add_nc_u32_e32 v44, 0xf40, v29
	v_mul_lo_u16 v0, 0xcd, v8
	v_add_nc_u32_e32 v43, 0x780, v29
	v_mul_lo_u16 v20, 0xeb, v8
	v_lshrrev_b16 v10, 10, v0
	v_lshrrev_b16 v25, 13, v20
	v_mov_b32_e32 v20, 35
	v_mul_lo_u16 v0, v10, 5
	v_mul_lo_u16 v23, v25, 35
	v_mul_u32_u24_sdwa v10, v10, v20 dst_sel:DWORD dst_unused:UNUSED_PAD src0_sel:WORD_0 src1_sel:DWORD
	v_sub_nc_u16 v0, v31, v0
	v_sub_nc_u16 v20, v31, v23
	v_and_b32_e32 v11, 0xff, v0
	v_and_b32_e32 v28, 0xff, v20
	v_mul_u32_u24_e32 v0, 6, v11
	v_add_lshl_u32 v40, v10, v11, 2
	v_mad_u64_u32 v[10:11], null, v28, 24, s[0:1]
	v_lshlrev_b32_e32 v4, 2, v0
	s_clause 0x1
	global_load_dwordx4 v[0:3], v4, s[0:1]
	global_load_dwordx2 v[21:22], v4, s[0:1] offset:16
	ds_read2_b32 v[4:5], v29 offset1:245
	ds_read_b32 v19, v29 offset:5880
	ds_read2_b32 v[6:7], v43 offset0:10 offset1:255
	ds_read2_b32 v[8:9], v44 offset0:4 offset1:249
	s_waitcnt vmcnt(0) lgkmcnt(0)
	s_barrier
	buffer_gl0_inv
	v_lshrrev_b32_e32 v24, 16, v19
	v_lshrrev_b32_e32 v23, 16, v5
	;; [unrolled: 1-line block ×6, first 2 shown]
	v_mul_f16_sdwa v45, v23, v0 dst_sel:DWORD dst_unused:UNUSED_PAD src0_sel:DWORD src1_sel:WORD_1
	v_mul_f16_sdwa v46, v5, v0 dst_sel:DWORD dst_unused:UNUSED_PAD src0_sel:DWORD src1_sel:WORD_1
	;; [unrolled: 1-line block ×12, first 2 shown]
	v_fma_f16 v5, v5, v0, -v45
	v_fmac_f16_e32 v46, v23, v0
	v_fma_f16 v6, v6, v1, -v47
	v_fmac_f16_e32 v48, v26, v1
	;; [unrolled: 2-line block ×6, first 2 shown]
	v_add_f16_e32 v20, v5, v19
	v_add_f16_e32 v23, v46, v56
	;; [unrolled: 1-line block ×4, first 2 shown]
	v_sub_f16_e32 v5, v5, v19
	v_sub_f16_e32 v19, v46, v56
	;; [unrolled: 1-line block ×4, first 2 shown]
	v_add_f16_e32 v27, v7, v8
	v_add_f16_e32 v42, v50, v52
	v_sub_f16_e32 v7, v8, v7
	v_sub_f16_e32 v8, v52, v50
	v_add_f16_e32 v45, v24, v20
	v_add_f16_e32 v46, v26, v23
	v_sub_f16_e32 v47, v24, v20
	v_sub_f16_e32 v48, v26, v23
	;; [unrolled: 1-line block ×6, first 2 shown]
	v_add_f16_e32 v49, v7, v6
	v_add_f16_e32 v50, v8, v9
	v_sub_f16_e32 v51, v7, v6
	v_sub_f16_e32 v52, v8, v9
	;; [unrolled: 1-line block ×4, first 2 shown]
	v_add_f16_e32 v27, v27, v45
	v_add_f16_e32 v42, v42, v46
	v_sub_f16_e32 v7, v5, v7
	v_sub_f16_e32 v8, v19, v8
	v_add_f16_e32 v5, v49, v5
	v_add_f16_e32 v19, v50, v19
	v_mul_f16_e32 v20, 0x3a52, v20
	v_mul_f16_e32 v23, 0x3a52, v23
	;; [unrolled: 1-line block ×8, first 2 shown]
	v_add_f16_e32 v53, v4, v27
	v_add_f16_sdwa v4, v4, v42 dst_sel:DWORD dst_unused:UNUSED_PAD src0_sel:WORD_1 src1_sel:DWORD
	v_fmamk_f16 v24, v24, 0x2b26, v20
	v_fmamk_f16 v26, v26, 0x2b26, v23
	v_fma_f16 v45, v47, 0x39e0, -v45
	v_fma_f16 v46, v48, 0x39e0, -v46
	;; [unrolled: 1-line block ×4, first 2 shown]
	v_fmamk_f16 v47, v7, 0x3574, v49
	v_fmamk_f16 v48, v8, 0x3574, v50
	v_fma_f16 v6, v6, 0x3b00, -v49
	v_fma_f16 v9, v9, 0x3b00, -v50
	v_fma_f16 v7, v7, 0xb574, -v51
	v_fma_f16 v8, v8, 0xb574, -v52
	v_fmamk_f16 v27, v27, 0xbcab, v53
	v_fmamk_f16 v42, v42, 0xbcab, v4
	v_fmac_f16_e32 v47, 0x370e, v5
	v_fmac_f16_e32 v48, 0x370e, v19
	;; [unrolled: 1-line block ×6, first 2 shown]
	v_add_f16_e32 v5, v24, v27
	v_add_f16_e32 v19, v26, v42
	;; [unrolled: 1-line block ×7, first 2 shown]
	v_sub_f16_e32 v42, v19, v47
	v_add_f16_e32 v45, v8, v20
	v_sub_f16_e32 v46, v23, v7
	v_sub_f16_e32 v49, v24, v9
	v_add_f16_e32 v50, v6, v26
	v_add_f16_e32 v9, v9, v24
	v_sub_f16_e32 v6, v26, v6
	v_sub_f16_e32 v8, v20, v8
	v_add_f16_e32 v7, v7, v23
	v_sub_f16_e32 v5, v5, v48
	v_add_f16_e32 v19, v47, v19
	v_pack_b32_f16 v4, v53, v4
	v_pack_b32_f16 v20, v27, v42
	;; [unrolled: 1-line block ×7, first 2 shown]
	ds_write2_b32 v40, v4, v20 offset1:5
	ds_write2_b32 v40, v23, v24 offset0:10 offset1:15
	ds_write2_b32 v40, v6, v7 offset0:20 offset1:25
	ds_write_b32 v40, v5 offset:120
	s_waitcnt lgkmcnt(0)
	s_barrier
	buffer_gl0_inv
	s_clause 0x1
	global_load_dwordx4 v[4:7], v[10:11], off offset:120
	global_load_dwordx2 v[23:24], v[10:11], off offset:136
	ds_read2_b32 v[8:9], v29 offset1:245
	ds_read2_b32 v[10:11], v43 offset0:10 offset1:255
	ds_read2_b32 v[19:20], v44 offset0:4 offset1:249
	ds_read_b32 v27, v29 offset:5880
	v_mov_b32_e32 v26, 0xf5
	s_waitcnt vmcnt(0) lgkmcnt(0)
	s_barrier
	buffer_gl0_inv
	v_mul_u32_u24_sdwa v42, v25, v26 dst_sel:DWORD dst_unused:UNUSED_PAD src0_sel:WORD_0 src1_sel:DWORD
	v_mad_u64_u32 v[25:26], null, v31, 24, s[0:1]
	v_add_lshl_u32 v42, v42, v28, 2
	v_lshrrev_b32_e32 v28, 16, v9
	v_lshrrev_b32_e32 v45, 16, v10
	;; [unrolled: 1-line block ×6, first 2 shown]
	v_mul_f16_sdwa v50, v28, v4 dst_sel:DWORD dst_unused:UNUSED_PAD src0_sel:DWORD src1_sel:WORD_1
	v_mul_f16_sdwa v51, v9, v4 dst_sel:DWORD dst_unused:UNUSED_PAD src0_sel:DWORD src1_sel:WORD_1
	;; [unrolled: 1-line block ×12, first 2 shown]
	v_fma_f16 v9, v9, v4, -v50
	v_fmac_f16_e32 v51, v28, v4
	v_fma_f16 v10, v10, v5, -v52
	v_fmac_f16_e32 v53, v45, v5
	;; [unrolled: 2-line block ×6, first 2 shown]
	v_add_f16_e32 v28, v9, v27
	v_add_f16_e32 v45, v51, v61
	;; [unrolled: 1-line block ×4, first 2 shown]
	v_sub_f16_e32 v9, v9, v27
	v_sub_f16_e32 v27, v51, v61
	;; [unrolled: 1-line block ×4, first 2 shown]
	v_add_f16_e32 v48, v11, v19
	v_add_f16_e32 v49, v55, v57
	v_sub_f16_e32 v11, v19, v11
	v_sub_f16_e32 v19, v57, v55
	v_add_f16_e32 v50, v46, v28
	v_add_f16_e32 v51, v47, v45
	v_sub_f16_e32 v52, v46, v28
	v_sub_f16_e32 v53, v47, v45
	;; [unrolled: 1-line block ×6, first 2 shown]
	v_add_f16_e32 v54, v11, v10
	v_add_f16_e32 v55, v19, v20
	v_sub_f16_e32 v56, v11, v10
	v_sub_f16_e32 v57, v19, v20
	;; [unrolled: 1-line block ×4, first 2 shown]
	v_add_f16_e32 v48, v48, v50
	v_add_f16_e32 v49, v49, v51
	v_sub_f16_e32 v11, v9, v11
	v_sub_f16_e32 v19, v27, v19
	v_add_f16_e32 v9, v54, v9
	v_add_f16_e32 v27, v55, v27
	v_mul_f16_e32 v28, 0x3a52, v28
	v_mul_f16_e32 v45, 0x3a52, v45
	;; [unrolled: 1-line block ×8, first 2 shown]
	v_add_f16_e32 v58, v8, v48
	v_add_f16_sdwa v8, v8, v49 dst_sel:DWORD dst_unused:UNUSED_PAD src0_sel:WORD_1 src1_sel:DWORD
	v_fmamk_f16 v46, v46, 0x2b26, v28
	v_fmamk_f16 v47, v47, 0x2b26, v45
	v_fma_f16 v50, v52, 0x39e0, -v50
	v_fma_f16 v51, v53, 0x39e0, -v51
	;; [unrolled: 1-line block ×4, first 2 shown]
	v_fmamk_f16 v52, v11, 0x3574, v54
	v_fmamk_f16 v53, v19, 0x3574, v55
	v_fma_f16 v10, v10, 0x3b00, -v54
	v_fma_f16 v20, v20, 0x3b00, -v55
	;; [unrolled: 1-line block ×4, first 2 shown]
	v_fmamk_f16 v48, v48, 0xbcab, v58
	v_fmamk_f16 v49, v49, 0xbcab, v8
	v_fmac_f16_e32 v52, 0x370e, v9
	v_fmac_f16_e32 v53, 0x370e, v27
	v_fmac_f16_e32 v10, 0x370e, v9
	v_fmac_f16_e32 v20, 0x370e, v27
	v_fmac_f16_e32 v11, 0x370e, v9
	v_fmac_f16_e32 v19, 0x370e, v27
	v_add_f16_e32 v9, v46, v48
	v_add_f16_e32 v27, v47, v49
	;; [unrolled: 1-line block ×7, first 2 shown]
	v_sub_f16_e32 v49, v27, v52
	v_add_f16_e32 v50, v19, v28
	v_sub_f16_e32 v51, v45, v11
	v_sub_f16_e32 v54, v46, v20
	v_add_f16_e32 v55, v10, v47
	v_add_f16_e32 v20, v20, v46
	v_sub_f16_e32 v10, v47, v10
	v_sub_f16_e32 v19, v28, v19
	v_add_f16_e32 v11, v11, v45
	v_sub_f16_e32 v9, v9, v53
	v_add_f16_e32 v27, v52, v27
	v_pack_b32_f16 v8, v58, v8
	v_pack_b32_f16 v28, v48, v49
	;; [unrolled: 1-line block ×7, first 2 shown]
	ds_write2_b32 v42, v8, v28 offset1:35
	ds_write2_b32 v42, v45, v46 offset0:70 offset1:105
	ds_write2_b32 v42, v10, v11 offset0:140 offset1:175
	ds_write_b32 v42, v9 offset:840
	s_waitcnt lgkmcnt(0)
	s_barrier
	buffer_gl0_inv
	s_clause 0x1
	global_load_dwordx4 v[8:11], v[25:26], off offset:960
	global_load_dwordx2 v[25:26], v[25:26], off offset:976
	ds_read2_b32 v[45:46], v29 offset1:245
	ds_read2_b32 v[19:20], v43 offset0:10 offset1:255
	ds_read2_b32 v[27:28], v44 offset0:4 offset1:249
	ds_read_b32 v47, v29 offset:5880
	s_waitcnt lgkmcnt(3)
	v_lshrrev_b32_e32 v48, 16, v46
	s_waitcnt lgkmcnt(2)
	v_lshrrev_b32_e32 v49, 16, v19
	;; [unrolled: 2-line block ×4, first 2 shown]
	v_lshrrev_b32_e32 v50, 16, v20
	v_lshrrev_b32_e32 v51, 16, v27
	s_waitcnt vmcnt(1)
	v_mul_f16_sdwa v54, v48, v8 dst_sel:DWORD dst_unused:UNUSED_PAD src0_sel:DWORD src1_sel:WORD_1
	v_mul_f16_sdwa v55, v46, v8 dst_sel:DWORD dst_unused:UNUSED_PAD src0_sel:DWORD src1_sel:WORD_1
	;; [unrolled: 1-line block ×4, first 2 shown]
	s_waitcnt vmcnt(0)
	v_mul_f16_sdwa v59, v53, v26 dst_sel:DWORD dst_unused:UNUSED_PAD src0_sel:DWORD src1_sel:WORD_1
	v_mul_f16_sdwa v60, v47, v26 dst_sel:DWORD dst_unused:UNUSED_PAD src0_sel:DWORD src1_sel:WORD_1
	v_mul_f16_sdwa v62, v52, v25 dst_sel:DWORD dst_unused:UNUSED_PAD src0_sel:DWORD src1_sel:WORD_1
	v_mul_f16_sdwa v63, v28, v25 dst_sel:DWORD dst_unused:UNUSED_PAD src0_sel:DWORD src1_sel:WORD_1
	v_fmac_f16_e32 v55, v48, v8
	v_fmac_f16_e32 v57, v49, v9
	v_fma_f16 v47, v47, v26, -v59
	v_fmac_f16_e32 v60, v53, v26
	v_fma_f16 v46, v46, v8, -v54
	v_fma_f16 v19, v19, v9, -v56
	v_fmac_f16_e32 v63, v52, v25
	v_fma_f16 v28, v28, v25, -v62
	v_mul_f16_sdwa v58, v50, v10 dst_sel:DWORD dst_unused:UNUSED_PAD src0_sel:DWORD src1_sel:WORD_1
	v_mul_f16_sdwa v61, v20, v10 dst_sel:DWORD dst_unused:UNUSED_PAD src0_sel:DWORD src1_sel:WORD_1
	;; [unrolled: 1-line block ×4, first 2 shown]
	v_pack_b32_f16 v46, v46, v55
	v_pack_b32_f16 v47, v47, v60
	;; [unrolled: 1-line block ×4, first 2 shown]
	v_fma_f16 v20, v20, v10, -v58
	v_fmac_f16_e32 v61, v50, v10
	v_fma_f16 v49, v27, v11, -v64
	v_fmac_f16_e32 v65, v51, v11
	v_pk_add_f16 v50, v46, v47
	v_pk_add_f16 v51, v19, v48
	v_pack_b32_f16 v53, v61, v20
	v_pk_add_f16 v46, v46, v47 neg_lo:[0,1] neg_hi:[0,1]
	v_pack_b32_f16 v52, v65, v49
	v_pack_b32_f16 v54, v50, v61
	;; [unrolled: 1-line block ×3, first 2 shown]
	v_bfi_b32 v20, 0xffff, v20, v50
	v_bfi_b32 v49, 0xffff, v49, v51
	v_pk_add_f16 v47, v19, v48 neg_lo:[0,1] neg_hi:[0,1]
	v_pk_add_f16 v48, v52, v53 neg_lo:[0,1] neg_hi:[0,1]
	v_pk_add_f16 v52, v54, v55
	v_pk_add_f16 v53, v51, v50 neg_lo:[0,1] neg_hi:[0,1]
	v_pk_add_f16 v49, v20, v49
	v_pk_add_f16 v57, v47, v46 op_sel:[1,1] op_sel_hi:[0,0] neg_lo:[0,1] neg_hi:[0,1]
	v_pk_add_f16 v54, v48, v47 op_sel:[0,1] op_sel_hi:[1,0]
	v_pk_add_f16 v55, v46, v48 op_sel:[1,0] op_sel_hi:[0,1] neg_lo:[0,1] neg_hi:[0,1]
	v_pk_add_f16 v47, v48, v47 op_sel:[0,1] op_sel_hi:[1,0] neg_lo:[0,1] neg_hi:[0,1]
	v_bfi_b32 v56, 0xffff, v49, v52
	v_pk_add_f16 v48, v52, v49
	v_pk_add_f16 v46, v54, v46 op_sel:[0,1] op_sel_hi:[1,0]
	v_add_co_u32 v27, s0, 0x1acc, v16
	v_pk_add_f16 v49, v50, v56 neg_lo:[0,1] neg_hi:[0,1]
	v_pk_add_f16 v51, v56, v51 neg_lo:[0,1] neg_hi:[0,1]
	v_pk_mul_f16 v50, 0x3b00, v57 op_sel_hi:[0,1]
	v_pk_mul_f16 v47, 0xb846, v47 op_sel_hi:[0,1]
	v_pk_add_f16 v52, v45, v48
	v_pk_mul_f16 v45, 0x3a52, v49 op_sel_hi:[0,1]
	v_pk_mul_f16 v51, 0x2b26, v51 op_sel_hi:[0,1]
	v_pk_fma_f16 v50, 0x3574, v55, v50 op_sel_hi:[0,1,1] neg_lo:[0,1,1] neg_hi:[0,1,1]
	v_pk_fma_f16 v54, 0x3574, v55, v47 op_sel_hi:[0,1,1]
	v_pk_fma_f16 v48, 0xbcab, v48, v52 op_sel_hi:[0,1,1]
	v_pk_fma_f16 v45, 0x39e0, v53, v45 op_sel_hi:[0,1,1] neg_lo:[0,1,1] neg_hi:[0,1,1]
	v_pk_fma_f16 v47, 0x3b00, v57, v47 op_sel_hi:[0,1,1] neg_lo:[0,0,1] neg_hi:[0,0,1]
	;; [unrolled: 1-line block ×3, first 2 shown]
	v_pk_fma_f16 v49, 0x3a52, v49, v51 op_sel_hi:[0,1,1]
	v_pk_fma_f16 v50, 0x370e, v46, v50 op_sel_hi:[0,1,1]
	v_pk_add_f16 v45, v45, v48
	v_pk_fma_f16 v47, 0x370e, v46, v47 op_sel_hi:[0,1,1]
	v_pk_add_f16 v51, v53, v48
	;; [unrolled: 2-line block ×3, first 2 shown]
	v_add_co_ci_u32_e64 v28, s0, 0, v17, s0
	v_add_co_u32 v19, s0, 0x1800, v16
	v_pk_add_f16 v53, v48, v46 neg_lo:[0,1] neg_hi:[0,1]
	v_pk_add_f16 v54, v48, v46
	v_pk_add_f16 v49, v45, v50 neg_lo:[0,1] neg_hi:[0,1]
	v_pk_add_f16 v45, v45, v50
	;; [unrolled: 2-line block ×3, first 2 shown]
	v_add_co_ci_u32_e64 v20, s0, 0, v17, s0
	v_add_co_u32 v47, s0, 0x2000, v16
	v_bfi_b32 v57, 0xffff, v54, v53
	v_add_co_ci_u32_e64 v48, s0, 0, v17, s0
	v_bfi_b32 v55, 0xffff, v45, v49
	v_bfi_b32 v56, 0xffff, v50, v51
	v_bfi_b32 v46, 0xffff, v49, v45
	v_bfi_b32 v51, 0xffff, v51, v50
	v_add_co_u32 v49, s0, 0x2800, v16
	v_bfi_b32 v45, 0xffff, v53, v54
	v_add_co_ci_u32_e64 v50, s0, 0, v17, s0
	ds_write2_b32 v29, v52, v57 offset1:245
	ds_write2_b32 v43, v55, v56 offset0:10 offset1:255
	ds_write2_b32 v44, v51, v46 offset0:4 offset1:249
	ds_write_b32 v29, v45 offset:5880
	v_add_co_u32 v43, s0, 0x3000, v16
	s_waitcnt lgkmcnt(0)
	s_barrier
	buffer_gl0_inv
	s_clause 0x1
	global_load_dword v51, v[19:20], off offset:716
	global_load_dword v52, v[27:28], off offset:1372
	v_add_co_ci_u32_e64 v44, s0, 0, v17, s0
	s_clause 0x2
	global_load_dword v47, v[47:48], off offset:1412
	global_load_dword v48, v[49:50], off offset:736
	;; [unrolled: 1-line block ×3, first 2 shown]
	ds_read_b32 v44, v29
	ds_read_b32 v49, v29 offset:1372
	ds_read_b32 v50, v29 offset:2744
	;; [unrolled: 1-line block ×4, first 2 shown]
	s_waitcnt lgkmcnt(4)
	v_lshrrev_b32_e32 v55, 16, v44
	s_waitcnt lgkmcnt(3)
	v_lshrrev_b32_e32 v56, 16, v49
	;; [unrolled: 2-line block ×5, first 2 shown]
	s_waitcnt vmcnt(4)
	v_mul_f16_sdwa v60, v55, v51 dst_sel:DWORD dst_unused:UNUSED_PAD src0_sel:DWORD src1_sel:WORD_1
	v_mul_f16_sdwa v61, v44, v51 dst_sel:DWORD dst_unused:UNUSED_PAD src0_sel:DWORD src1_sel:WORD_1
	s_waitcnt vmcnt(3)
	v_mul_f16_sdwa v62, v56, v52 dst_sel:DWORD dst_unused:UNUSED_PAD src0_sel:DWORD src1_sel:WORD_1
	v_mul_f16_sdwa v63, v49, v52 dst_sel:DWORD dst_unused:UNUSED_PAD src0_sel:DWORD src1_sel:WORD_1
	s_waitcnt vmcnt(2)
	v_mul_f16_sdwa v64, v57, v47 dst_sel:DWORD dst_unused:UNUSED_PAD src0_sel:DWORD src1_sel:WORD_1
	v_mul_f16_sdwa v65, v50, v47 dst_sel:DWORD dst_unused:UNUSED_PAD src0_sel:DWORD src1_sel:WORD_1
	s_waitcnt vmcnt(1)
	v_mul_f16_sdwa v66, v58, v48 dst_sel:DWORD dst_unused:UNUSED_PAD src0_sel:DWORD src1_sel:WORD_1
	v_mul_f16_sdwa v67, v53, v48 dst_sel:DWORD dst_unused:UNUSED_PAD src0_sel:DWORD src1_sel:WORD_1
	s_waitcnt vmcnt(0)
	v_mul_f16_sdwa v68, v59, v43 dst_sel:DWORD dst_unused:UNUSED_PAD src0_sel:DWORD src1_sel:WORD_1
	v_mul_f16_sdwa v69, v54, v43 dst_sel:DWORD dst_unused:UNUSED_PAD src0_sel:DWORD src1_sel:WORD_1
	v_fma_f16 v44, v44, v51, -v60
	v_fmac_f16_e32 v61, v55, v51
	v_fma_f16 v49, v49, v52, -v62
	v_fmac_f16_e32 v63, v56, v52
	;; [unrolled: 2-line block ×5, first 2 shown]
	v_pack_b32_f16 v43, v44, v61
	v_pack_b32_f16 v44, v49, v63
	;; [unrolled: 1-line block ×5, first 2 shown]
	ds_write_b32 v29, v43
	ds_write_b32 v29, v44 offset:1372
	ds_write_b32 v29, v49 offset:2744
	;; [unrolled: 1-line block ×4, first 2 shown]
	s_and_saveexec_b32 s1, vcc_lo
	s_cbranch_execz .LBB0_9
; %bb.8:
	v_add_co_u32 v43, s0, 0x800, v27
	v_add_co_ci_u32_e64 v44, s0, 0, v28, s0
	v_add_co_u32 v47, s0, 0x1000, v27
	s_clause 0x1
	global_load_dword v49, v[27:28], off offset:980
	global_load_dword v50, v[43:44], off offset:304
	v_add_co_ci_u32_e64 v48, s0, 0, v28, s0
	v_add_co_u32 v27, s0, 0x1800, v27
	v_add_co_ci_u32_e64 v28, s0, 0, v28, s0
	s_clause 0x2
	global_load_dword v43, v[43:44], off offset:1676
	global_load_dword v44, v[47:48], off offset:1000
	;; [unrolled: 1-line block ×3, first 2 shown]
	ds_read_b32 v28, v29 offset:980
	ds_read_b32 v47, v29 offset:2352
	ds_read_b32 v48, v29 offset:3724
	ds_read_b32 v51, v29 offset:5096
	ds_read_b32 v52, v29 offset:6468
	s_waitcnt lgkmcnt(4)
	v_lshrrev_b32_e32 v53, 16, v28
	s_waitcnt lgkmcnt(3)
	v_lshrrev_b32_e32 v54, 16, v47
	;; [unrolled: 2-line block ×5, first 2 shown]
	s_waitcnt vmcnt(4)
	v_mul_f16_sdwa v55, v53, v49 dst_sel:DWORD dst_unused:UNUSED_PAD src0_sel:DWORD src1_sel:WORD_1
	v_mul_f16_sdwa v56, v28, v49 dst_sel:DWORD dst_unused:UNUSED_PAD src0_sel:DWORD src1_sel:WORD_1
	v_fma_f16 v28, v28, v49, -v55
	v_fmac_f16_e32 v56, v53, v49
	s_waitcnt vmcnt(3)
	v_mul_f16_sdwa v49, v54, v50 dst_sel:DWORD dst_unused:UNUSED_PAD src0_sel:DWORD src1_sel:WORD_1
	v_mul_f16_sdwa v53, v47, v50 dst_sel:DWORD dst_unused:UNUSED_PAD src0_sel:DWORD src1_sel:WORD_1
	s_waitcnt vmcnt(2)
	v_mul_f16_sdwa v55, v57, v43 dst_sel:DWORD dst_unused:UNUSED_PAD src0_sel:DWORD src1_sel:WORD_1
	v_mul_f16_sdwa v60, v48, v43 dst_sel:DWORD dst_unused:UNUSED_PAD src0_sel:DWORD src1_sel:WORD_1
	;; [unrolled: 3-line block ×4, first 2 shown]
	v_fma_f16 v47, v47, v50, -v49
	v_fmac_f16_e32 v53, v54, v50
	v_fma_f16 v48, v48, v43, -v55
	v_fmac_f16_e32 v60, v57, v43
	;; [unrolled: 2-line block ×4, first 2 shown]
	v_pack_b32_f16 v27, v28, v56
	v_pack_b32_f16 v28, v47, v53
	;; [unrolled: 1-line block ×5, first 2 shown]
	ds_write_b32 v29, v27 offset:980
	ds_write_b32 v29, v28 offset:2352
	;; [unrolled: 1-line block ×5, first 2 shown]
.LBB0_9:
	s_or_b32 exec_lo, exec_lo, s1
	s_waitcnt lgkmcnt(0)
	s_barrier
	buffer_gl0_inv
	ds_read_b32 v47, v29
	ds_read_b32 v43, v29 offset:1372
	ds_read_b32 v44, v29 offset:2744
	;; [unrolled: 1-line block ×4, first 2 shown]
	s_and_saveexec_b32 s0, vcc_lo
	s_cbranch_execz .LBB0_11
; %bb.10:
	ds_read_b32 v46, v29 offset:980
	ds_read_b32 v45, v29 offset:2352
	;; [unrolled: 1-line block ×5, first 2 shown]
.LBB0_11:
	s_or_b32 exec_lo, exec_lo, s0
	s_waitcnt lgkmcnt(1)
	v_pk_add_f16 v48, v44, v28
	s_waitcnt lgkmcnt(0)
	v_pk_add_f16 v49, v43, v27 neg_lo:[0,1] neg_hi:[0,1]
	v_pk_add_f16 v51, v44, v28 neg_lo:[0,1] neg_hi:[0,1]
	v_pk_add_f16 v53, v43, v27
	v_pk_add_f16 v50, v47, v43
	v_pk_fma_f16 v48, v48, 0.5, v47 op_sel_hi:[1,0,1] neg_lo:[1,0,0] neg_hi:[1,0,0]
	v_pk_mul_f16 v52, 0x3b9c, v49 op_sel_hi:[0,1]
	v_pk_mul_f16 v54, 0x38b4, v51 op_sel_hi:[0,1]
	v_pk_fma_f16 v47, v53, 0.5, v47 op_sel_hi:[1,0,1] neg_lo:[1,0,0] neg_hi:[1,0,0]
	v_pk_mul_f16 v51, 0x3b9c, v51 op_sel_hi:[0,1]
	v_pk_mul_f16 v49, 0x38b4, v49 op_sel_hi:[0,1]
	v_pk_add_f16 v56, v48, v52 op_sel:[0,1] op_sel_hi:[1,0] neg_lo:[0,1] neg_hi:[0,1]
	v_pk_add_f16 v48, v48, v52 op_sel:[0,1] op_sel_hi:[1,0]
	v_pk_add_f16 v50, v50, v44
	v_pk_add_f16 v55, v43, v44 neg_lo:[0,1] neg_hi:[0,1]
	v_pk_add_f16 v53, v27, v28 neg_lo:[0,1] neg_hi:[0,1]
	v_pk_add_f16 v52, v56, v54 op_sel:[0,1] op_sel_hi:[1,0] neg_lo:[0,1] neg_hi:[0,1]
	v_pk_add_f16 v56, v47, v51 op_sel:[0,1] op_sel_hi:[1,0]
	v_pk_add_f16 v47, v47, v51 op_sel:[0,1] op_sel_hi:[1,0] neg_lo:[0,1] neg_hi:[0,1]
	v_pk_add_f16 v48, v48, v54 op_sel:[0,1] op_sel_hi:[1,0]
	v_pk_add_f16 v43, v44, v43 neg_lo:[0,1] neg_hi:[0,1]
	v_pk_add_f16 v44, v28, v27 neg_lo:[0,1] neg_hi:[0,1]
	v_pk_add_f16 v51, v56, v49 op_sel:[0,1] op_sel_hi:[1,0] neg_lo:[0,1] neg_hi:[0,1]
	v_pk_add_f16 v47, v47, v49 op_sel:[0,1] op_sel_hi:[1,0]
	v_pk_add_f16 v28, v50, v28
	v_pk_add_f16 v49, v55, v53
	v_bfi_b32 v50, 0xffff, v52, v48
	v_pk_add_f16 v43, v43, v44
	v_bfi_b32 v44, 0xffff, v51, v47
	v_bfi_b32 v47, 0xffff, v47, v51
	v_bfi_b32 v48, 0xffff, v48, v52
	v_pk_add_f16 v27, v28, v27
	v_pk_fma_f16 v28, 0x34f2, v49, v50 op_sel_hi:[0,1,1]
	v_pk_fma_f16 v44, 0x34f2, v43, v44 op_sel_hi:[0,1,1]
	;; [unrolled: 1-line block ×4, first 2 shown]
	s_barrier
	buffer_gl0_inv
	ds_write2_b32 v39, v27, v28 offset1:1
	ds_write2_b32 v39, v44, v43 offset0:2 offset1:3
	ds_write_b32 v39, v47 offset:16
	s_and_saveexec_b32 s0, vcc_lo
	s_cbranch_execz .LBB0_13
; %bb.12:
	v_pk_add_f16 v27, v38, v37
	v_pk_add_f16 v28, v45, v36 neg_lo:[0,1] neg_hi:[0,1]
	v_pk_add_f16 v43, v38, v37 neg_lo:[0,1] neg_hi:[0,1]
	v_pk_add_f16 v47, v45, v36
	v_pk_add_f16 v39, v46, v45
	v_pk_fma_f16 v27, v27, 0.5, v46 op_sel_hi:[1,0,1] neg_lo:[1,0,0] neg_hi:[1,0,0]
	v_pk_mul_f16 v44, 0x3b9c, v28 op_sel_hi:[0,1]
	v_pk_mul_f16 v48, 0x38b4, v43 op_sel_hi:[0,1]
	v_pk_fma_f16 v46, v47, 0.5, v46 op_sel_hi:[1,0,1] neg_lo:[1,0,0] neg_hi:[1,0,0]
	v_pk_mul_f16 v43, 0x3b9c, v43 op_sel_hi:[0,1]
	v_pk_mul_f16 v28, 0x38b4, v28 op_sel_hi:[0,1]
	v_pk_add_f16 v50, v27, v44 op_sel:[0,1] op_sel_hi:[1,0] neg_lo:[0,1] neg_hi:[0,1]
	v_pk_add_f16 v27, v27, v44 op_sel:[0,1] op_sel_hi:[1,0]
	v_pk_add_f16 v39, v39, v38
	v_pk_add_f16 v49, v45, v38 neg_lo:[0,1] neg_hi:[0,1]
	v_pk_add_f16 v47, v36, v37 neg_lo:[0,1] neg_hi:[0,1]
	v_pk_add_f16 v44, v50, v48 op_sel:[0,1] op_sel_hi:[1,0] neg_lo:[0,1] neg_hi:[0,1]
	v_pk_add_f16 v50, v46, v43 op_sel:[0,1] op_sel_hi:[1,0]
	v_pk_add_f16 v43, v46, v43 op_sel:[0,1] op_sel_hi:[1,0] neg_lo:[0,1] neg_hi:[0,1]
	v_pk_add_f16 v27, v27, v48 op_sel:[0,1] op_sel_hi:[1,0]
	v_pk_add_f16 v38, v38, v45 neg_lo:[0,1] neg_hi:[0,1]
	v_pk_add_f16 v45, v37, v36 neg_lo:[0,1] neg_hi:[0,1]
	v_pk_add_f16 v46, v50, v28 op_sel:[0,1] op_sel_hi:[1,0] neg_lo:[0,1] neg_hi:[0,1]
	v_pk_add_f16 v28, v43, v28 op_sel:[0,1] op_sel_hi:[1,0]
	v_pk_add_f16 v37, v39, v37
	v_pk_add_f16 v39, v49, v47
	v_bfi_b32 v43, 0xffff, v44, v27
	v_pk_add_f16 v38, v38, v45
	v_bfi_b32 v45, 0xffff, v46, v28
	v_bfi_b32 v28, 0xffff, v28, v46
	;; [unrolled: 1-line block ×3, first 2 shown]
	v_lshlrev_b32_e32 v41, 2, v41
	v_pk_add_f16 v36, v37, v36
	v_pk_fma_f16 v37, 0x34f2, v39, v43 op_sel_hi:[0,1,1]
	v_pk_fma_f16 v43, 0x34f2, v38, v45 op_sel_hi:[0,1,1]
	;; [unrolled: 1-line block ×4, first 2 shown]
	ds_write2_b32 v41, v36, v37 offset1:1
	ds_write2_b32 v41, v43, v28 offset0:2 offset1:3
	ds_write_b32 v41, v27 offset:16
.LBB0_13:
	s_or_b32 exec_lo, exec_lo, s0
	s_waitcnt lgkmcnt(0)
	s_barrier
	buffer_gl0_inv
	ds_read2_b32 v[36:37], v29 offset1:245
	v_add_nc_u32_e32 v27, 0x780, v29
	v_add_nc_u32_e32 v28, 0xf40, v29
	ds_read_b32 v41, v29 offset:5880
	ds_read2_b32 v[38:39], v27 offset0:10 offset1:255
	ds_read2_b32 v[43:44], v28 offset0:4 offset1:249
	s_waitcnt lgkmcnt(0)
	s_barrier
	buffer_gl0_inv
	s_mov_b32 s4, 0xde1d8e4
	s_mov_b32 s5, 0x3f431b51
	v_lshrrev_b32_e32 v45, 16, v37
	v_mul_f16_sdwa v47, v0, v37 dst_sel:DWORD dst_unused:UNUSED_PAD src0_sel:WORD_1 src1_sel:DWORD
	v_lshrrev_b32_e32 v46, 16, v41
	v_mul_f16_sdwa v48, v22, v41 dst_sel:DWORD dst_unused:UNUSED_PAD src0_sel:WORD_1 src1_sel:DWORD
	v_lshrrev_b32_e32 v49, 16, v38
	v_lshrrev_b32_e32 v50, 16, v39
	;; [unrolled: 1-line block ×3, first 2 shown]
	v_mul_f16_sdwa v53, v0, v45 dst_sel:DWORD dst_unused:UNUSED_PAD src0_sel:WORD_1 src1_sel:DWORD
	v_fma_f16 v45, v0, v45, -v47
	v_mul_f16_sdwa v47, v1, v38 dst_sel:DWORD dst_unused:UNUSED_PAD src0_sel:WORD_1 src1_sel:DWORD
	v_mul_f16_sdwa v54, v2, v39 dst_sel:DWORD dst_unused:UNUSED_PAD src0_sel:WORD_1 src1_sel:DWORD
	v_lshrrev_b32_e32 v51, 16, v43
	v_mul_f16_sdwa v56, v21, v44 dst_sel:DWORD dst_unused:UNUSED_PAD src0_sel:WORD_1 src1_sel:DWORD
	v_mul_f16_sdwa v57, v22, v46 dst_sel:DWORD dst_unused:UNUSED_PAD src0_sel:WORD_1 src1_sel:DWORD
	v_fma_f16 v46, v22, v46, -v48
	v_fmac_f16_e32 v53, v0, v37
	v_mul_f16_sdwa v0, v1, v49 dst_sel:DWORD dst_unused:UNUSED_PAD src0_sel:WORD_1 src1_sel:DWORD
	v_fma_f16 v37, v1, v49, -v47
	v_mul_f16_sdwa v47, v2, v50 dst_sel:DWORD dst_unused:UNUSED_PAD src0_sel:WORD_1 src1_sel:DWORD
	v_fma_f16 v48, v2, v50, -v54
	v_mul_f16_sdwa v50, v21, v52 dst_sel:DWORD dst_unused:UNUSED_PAD src0_sel:WORD_1 src1_sel:DWORD
	v_mul_f16_sdwa v55, v3, v43 dst_sel:DWORD dst_unused:UNUSED_PAD src0_sel:WORD_1 src1_sel:DWORD
	;; [unrolled: 1-line block ×3, first 2 shown]
	v_fmac_f16_e32 v57, v22, v41
	v_fmac_f16_e32 v0, v1, v38
	v_fmac_f16_e32 v47, v2, v39
	v_fmac_f16_e32 v50, v21, v44
	v_fma_f16 v2, v21, v52, -v56
	v_fmac_f16_e32 v49, v3, v43
	v_fma_f16 v1, v3, v51, -v55
	v_add_f16_e32 v3, v53, v57
	v_add_f16_e32 v21, v45, v46
	;; [unrolled: 1-line block ×4, first 2 shown]
	v_sub_f16_e32 v38, v45, v46
	v_sub_f16_e32 v0, v0, v50
	;; [unrolled: 1-line block ×3, first 2 shown]
	v_add_f16_e32 v37, v47, v49
	v_add_f16_e32 v43, v48, v1
	v_sub_f16_e32 v44, v49, v47
	v_sub_f16_e32 v1, v1, v48
	v_add_f16_e32 v45, v39, v3
	v_add_f16_e32 v46, v41, v21
	v_sub_f16_e32 v22, v53, v57
	v_sub_f16_e32 v47, v39, v3
	;; [unrolled: 1-line block ×7, first 2 shown]
	v_add_f16_e32 v49, v44, v0
	v_add_f16_e32 v50, v1, v2
	v_sub_f16_e32 v51, v44, v0
	v_sub_f16_e32 v52, v1, v2
	v_add_f16_e32 v37, v37, v45
	v_add_f16_e32 v43, v43, v46
	v_sub_f16_e32 v0, v0, v22
	v_sub_f16_e32 v2, v2, v38
	;; [unrolled: 1-line block ×4, first 2 shown]
	v_add_f16_e32 v22, v49, v22
	v_add_f16_e32 v38, v50, v38
	;; [unrolled: 1-line block ×3, first 2 shown]
	v_add_f16_sdwa v36, v36, v43 dst_sel:DWORD dst_unused:UNUSED_PAD src0_sel:WORD_1 src1_sel:DWORD
	v_mul_f16_e32 v3, 0x3a52, v3
	v_mul_f16_e32 v21, 0x3a52, v21
	;; [unrolled: 1-line block ×8, first 2 shown]
	v_fmamk_f16 v37, v37, 0xbcab, v45
	v_fmamk_f16 v43, v43, 0xbcab, v36
	;; [unrolled: 1-line block ×4, first 2 shown]
	v_fma_f16 v46, v47, 0x39e0, -v46
	v_fma_f16 v49, v48, 0x39e0, -v49
	;; [unrolled: 1-line block ×4, first 2 shown]
	v_fmamk_f16 v47, v44, 0xb574, v50
	v_fmamk_f16 v48, v1, 0xb574, v51
	v_fma_f16 v0, v0, 0xbb00, -v50
	v_fma_f16 v2, v2, 0xbb00, -v51
	;; [unrolled: 1-line block ×4, first 2 shown]
	v_add_f16_e32 v39, v39, v37
	v_add_f16_e32 v41, v41, v43
	v_fmac_f16_e32 v47, 0xb70e, v22
	v_fmac_f16_e32 v48, 0xb70e, v38
	v_add_f16_e32 v46, v46, v37
	v_add_f16_e32 v49, v49, v43
	;; [unrolled: 1-line block ×4, first 2 shown]
	v_fmac_f16_e32 v0, 0xb70e, v22
	v_fmac_f16_e32 v1, 0xb70e, v38
	;; [unrolled: 1-line block ×4, first 2 shown]
	v_add_f16_e32 v22, v48, v39
	v_sub_f16_e32 v37, v41, v47
	v_add_f16_e32 v38, v1, v3
	v_sub_f16_e32 v43, v21, v44
	v_sub_f16_e32 v50, v46, v2
	v_add_f16_e32 v51, v0, v49
	v_add_f16_e32 v2, v2, v46
	v_sub_f16_e32 v0, v49, v0
	v_sub_f16_e32 v1, v3, v1
	v_add_f16_e32 v3, v44, v21
	v_sub_f16_e32 v21, v39, v48
	v_add_f16_e32 v39, v47, v41
	v_pack_b32_f16 v36, v45, v36
	v_pack_b32_f16 v22, v22, v37
	;; [unrolled: 1-line block ×7, first 2 shown]
	ds_write2_b32 v40, v36, v22 offset1:5
	ds_write2_b32 v40, v37, v38 offset0:10 offset1:15
	ds_write2_b32 v40, v0, v1 offset0:20 offset1:25
	ds_write_b32 v40, v2 offset:120
	s_waitcnt lgkmcnt(0)
	s_barrier
	buffer_gl0_inv
	ds_read2_b32 v[0:1], v29 offset1:245
	ds_read2_b32 v[2:3], v27 offset0:10 offset1:255
	ds_read2_b32 v[21:22], v28 offset0:4 offset1:249
	ds_read_b32 v36, v29 offset:5880
	s_waitcnt lgkmcnt(0)
	s_barrier
	buffer_gl0_inv
	v_lshrrev_b32_e32 v37, 16, v1
	v_lshrrev_b32_e32 v38, 16, v2
	;; [unrolled: 1-line block ×3, first 2 shown]
	v_mul_f16_sdwa v41, v4, v1 dst_sel:DWORD dst_unused:UNUSED_PAD src0_sel:WORD_1 src1_sel:DWORD
	v_lshrrev_b32_e32 v43, 16, v21
	v_mul_f16_sdwa v40, v4, v37 dst_sel:DWORD dst_unused:UNUSED_PAD src0_sel:WORD_1 src1_sel:DWORD
	v_lshrrev_b32_e32 v44, 16, v22
	v_lshrrev_b32_e32 v45, 16, v36
	v_mul_f16_sdwa v46, v6, v3 dst_sel:DWORD dst_unused:UNUSED_PAD src0_sel:WORD_1 src1_sel:DWORD
	v_mul_f16_sdwa v47, v7, v43 dst_sel:DWORD dst_unused:UNUSED_PAD src0_sel:WORD_1 src1_sel:DWORD
	v_fmac_f16_e32 v40, v4, v1
	v_fma_f16 v1, v4, v37, -v41
	v_mul_f16_sdwa v4, v5, v38 dst_sel:DWORD dst_unused:UNUSED_PAD src0_sel:WORD_1 src1_sel:DWORD
	v_mul_f16_sdwa v37, v5, v2 dst_sel:DWORD dst_unused:UNUSED_PAD src0_sel:WORD_1 src1_sel:DWORD
	;; [unrolled: 1-line block ×3, first 2 shown]
	v_fmac_f16_e32 v47, v7, v21
	v_mul_f16_sdwa v21, v7, v21 dst_sel:DWORD dst_unused:UNUSED_PAD src0_sel:WORD_1 src1_sel:DWORD
	v_fmac_f16_e32 v4, v5, v2
	v_fma_f16 v2, v5, v38, -v37
	v_fmac_f16_e32 v41, v6, v3
	v_fma_f16 v3, v6, v39, -v46
	v_mul_f16_sdwa v5, v24, v45 dst_sel:DWORD dst_unused:UNUSED_PAD src0_sel:WORD_1 src1_sel:DWORD
	v_mul_f16_sdwa v6, v24, v36 dst_sel:DWORD dst_unused:UNUSED_PAD src0_sel:WORD_1 src1_sel:DWORD
	;; [unrolled: 1-line block ×4, first 2 shown]
	v_fma_f16 v7, v7, v43, -v21
	v_fmac_f16_e32 v5, v24, v36
	v_fma_f16 v6, v24, v45, -v6
	v_fmac_f16_e32 v37, v23, v22
	v_fma_f16 v21, v23, v44, -v38
	v_add_f16_e32 v36, v3, v7
	v_add_f16_e32 v22, v40, v5
	v_add_f16_e32 v23, v1, v6
	v_sub_f16_e32 v1, v1, v6
	v_add_f16_e32 v6, v4, v37
	v_add_f16_e32 v24, v2, v21
	v_sub_f16_e32 v4, v4, v37
	v_sub_f16_e32 v2, v2, v21
	v_add_f16_e32 v21, v41, v47
	v_sub_f16_e32 v37, v47, v41
	v_sub_f16_e32 v3, v7, v3
	v_add_f16_e32 v7, v6, v22
	v_add_f16_e32 v38, v24, v23
	v_sub_f16_e32 v5, v40, v5
	v_sub_f16_e32 v39, v6, v22
	;; [unrolled: 1-line block ×7, first 2 shown]
	v_add_f16_e32 v41, v37, v4
	v_add_f16_e32 v43, v3, v2
	v_sub_f16_e32 v44, v37, v4
	v_sub_f16_e32 v45, v3, v2
	v_add_f16_e32 v7, v21, v7
	v_add_f16_e32 v21, v36, v38
	v_sub_f16_e32 v4, v4, v5
	v_sub_f16_e32 v2, v2, v1
	;; [unrolled: 1-line block ×4, first 2 shown]
	v_add_f16_e32 v5, v41, v5
	v_add_f16_e32 v1, v43, v1
	;; [unrolled: 1-line block ×3, first 2 shown]
	v_add_f16_sdwa v0, v0, v21 dst_sel:DWORD dst_unused:UNUSED_PAD src0_sel:WORD_1 src1_sel:DWORD
	v_mul_f16_e32 v22, 0x3a52, v22
	v_mul_f16_e32 v23, 0x3a52, v23
	;; [unrolled: 1-line block ×8, first 2 shown]
	v_fmamk_f16 v7, v7, 0xbcab, v36
	v_fmamk_f16 v21, v21, 0xbcab, v0
	;; [unrolled: 1-line block ×4, first 2 shown]
	v_fma_f16 v38, v39, 0x39e0, -v38
	v_fma_f16 v41, v40, 0x39e0, -v41
	;; [unrolled: 1-line block ×4, first 2 shown]
	v_fmamk_f16 v39, v37, 0xb574, v43
	v_fmamk_f16 v40, v3, 0xb574, v44
	v_fma_f16 v4, v4, 0xbb00, -v43
	v_fma_f16 v2, v2, 0xbb00, -v44
	;; [unrolled: 1-line block ×4, first 2 shown]
	v_add_f16_e32 v6, v6, v7
	v_add_f16_e32 v24, v24, v21
	v_fmac_f16_e32 v39, 0xb70e, v5
	v_fmac_f16_e32 v40, 0xb70e, v1
	v_add_f16_e32 v38, v38, v7
	v_add_f16_e32 v41, v41, v21
	;; [unrolled: 1-line block ×4, first 2 shown]
	v_fmac_f16_e32 v4, 0xb70e, v5
	v_fmac_f16_e32 v3, 0xb70e, v1
	;; [unrolled: 1-line block ×4, first 2 shown]
	v_add_f16_e32 v1, v40, v6
	v_sub_f16_e32 v5, v24, v39
	v_add_f16_e32 v22, v3, v7
	v_sub_f16_e32 v23, v21, v37
	v_sub_f16_e32 v43, v38, v2
	v_add_f16_e32 v44, v4, v41
	v_add_f16_e32 v2, v2, v38
	v_sub_f16_e32 v4, v41, v4
	v_sub_f16_e32 v3, v7, v3
	v_add_f16_e32 v7, v37, v21
	v_sub_f16_e32 v6, v6, v40
	v_add_f16_e32 v21, v39, v24
	v_pack_b32_f16 v0, v36, v0
	v_pack_b32_f16 v1, v1, v5
	;; [unrolled: 1-line block ×7, first 2 shown]
	ds_write2_b32 v42, v0, v1 offset1:35
	ds_write2_b32 v42, v5, v22 offset0:70 offset1:105
	ds_write2_b32 v42, v2, v3 offset0:140 offset1:175
	ds_write_b32 v42, v4 offset:840
	s_waitcnt lgkmcnt(0)
	s_barrier
	buffer_gl0_inv
	ds_read2_b32 v[0:1], v29 offset1:245
	ds_read2_b32 v[2:3], v27 offset0:10 offset1:255
	ds_read2_b32 v[4:5], v28 offset0:4 offset1:249
	ds_read_b32 v6, v29 offset:5880
	s_waitcnt lgkmcnt(3)
	v_lshrrev_b32_e32 v7, 16, v1
	s_waitcnt lgkmcnt(2)
	v_lshrrev_b32_e32 v21, 16, v2
	v_lshrrev_b32_e32 v22, 16, v3
	v_mul_f16_sdwa v24, v8, v1 dst_sel:DWORD dst_unused:UNUSED_PAD src0_sel:WORD_1 src1_sel:DWORD
	s_waitcnt lgkmcnt(1)
	v_lshrrev_b32_e32 v36, 16, v4
	v_mul_f16_sdwa v23, v8, v7 dst_sel:DWORD dst_unused:UNUSED_PAD src0_sel:WORD_1 src1_sel:DWORD
	v_lshrrev_b32_e32 v37, 16, v5
	s_waitcnt lgkmcnt(0)
	v_lshrrev_b32_e32 v38, 16, v6
	v_mul_f16_sdwa v39, v10, v3 dst_sel:DWORD dst_unused:UNUSED_PAD src0_sel:WORD_1 src1_sel:DWORD
	v_mul_f16_sdwa v40, v11, v36 dst_sel:DWORD dst_unused:UNUSED_PAD src0_sel:WORD_1 src1_sel:DWORD
	v_fmac_f16_e32 v23, v8, v1
	v_fma_f16 v1, v8, v7, -v24
	v_mul_f16_sdwa v7, v9, v21 dst_sel:DWORD dst_unused:UNUSED_PAD src0_sel:WORD_1 src1_sel:DWORD
	v_mul_f16_sdwa v8, v9, v2 dst_sel:DWORD dst_unused:UNUSED_PAD src0_sel:WORD_1 src1_sel:DWORD
	;; [unrolled: 1-line block ×3, first 2 shown]
	v_fmac_f16_e32 v40, v11, v4
	v_mul_f16_sdwa v4, v11, v4 dst_sel:DWORD dst_unused:UNUSED_PAD src0_sel:WORD_1 src1_sel:DWORD
	v_fmac_f16_e32 v7, v9, v2
	v_fma_f16 v2, v9, v21, -v8
	v_fmac_f16_e32 v24, v10, v3
	v_fma_f16 v3, v10, v22, -v39
	v_mul_f16_sdwa v8, v26, v38 dst_sel:DWORD dst_unused:UNUSED_PAD src0_sel:WORD_1 src1_sel:DWORD
	v_mul_f16_sdwa v9, v26, v6 dst_sel:DWORD dst_unused:UNUSED_PAD src0_sel:WORD_1 src1_sel:DWORD
	;; [unrolled: 1-line block ×4, first 2 shown]
	v_fma_f16 v4, v11, v36, -v4
	v_fmac_f16_e32 v8, v26, v6
	v_fma_f16 v6, v26, v38, -v9
	v_fmac_f16_e32 v10, v25, v5
	v_fma_f16 v5, v25, v37, -v21
	v_sub_f16_e32 v22, v40, v24
	v_add_f16_e32 v9, v23, v8
	v_add_f16_e32 v11, v1, v6
	v_sub_f16_e32 v1, v1, v6
	v_add_f16_e32 v6, v7, v10
	v_add_f16_e32 v21, v2, v5
	v_sub_f16_e32 v8, v23, v8
	v_sub_f16_e32 v7, v7, v10
	v_sub_f16_e32 v2, v2, v5
	v_add_f16_e32 v5, v24, v40
	v_add_f16_e32 v10, v3, v4
	v_sub_f16_e32 v3, v4, v3
	v_add_f16_e32 v4, v6, v9
	v_add_f16_e32 v23, v21, v11
	v_sub_f16_e32 v24, v6, v9
	v_sub_f16_e32 v25, v21, v11
	;; [unrolled: 1-line block ×6, first 2 shown]
	v_add_f16_e32 v26, v22, v7
	v_add_f16_e32 v36, v3, v2
	v_sub_f16_e32 v37, v22, v7
	v_sub_f16_e32 v38, v3, v2
	v_add_f16_e32 v4, v5, v4
	v_add_f16_e32 v5, v10, v23
	v_sub_f16_e32 v7, v7, v8
	v_sub_f16_e32 v2, v2, v1
	;; [unrolled: 1-line block ×4, first 2 shown]
	v_add_f16_e32 v8, v26, v8
	v_add_f16_e32 v1, v36, v1
	;; [unrolled: 1-line block ×3, first 2 shown]
	v_add_f16_sdwa v0, v0, v5 dst_sel:DWORD dst_unused:UNUSED_PAD src0_sel:WORD_1 src1_sel:DWORD
	v_mul_f16_e32 v9, 0x3a52, v9
	v_mul_f16_e32 v11, 0x3a52, v11
	;; [unrolled: 1-line block ×8, first 2 shown]
	v_fmamk_f16 v4, v4, 0xbcab, v10
	v_fmamk_f16 v5, v5, 0xbcab, v0
	;; [unrolled: 1-line block ×4, first 2 shown]
	v_fma_f16 v23, v24, 0x39e0, -v23
	v_fma_f16 v26, v25, 0x39e0, -v26
	;; [unrolled: 1-line block ×4, first 2 shown]
	v_fmamk_f16 v24, v22, 0xb574, v36
	v_fmamk_f16 v25, v3, 0xb574, v37
	v_fma_f16 v7, v7, 0xbb00, -v36
	v_fma_f16 v2, v2, 0xbb00, -v37
	;; [unrolled: 1-line block ×4, first 2 shown]
	v_add_f16_e32 v6, v6, v4
	v_add_f16_e32 v21, v21, v5
	v_fmac_f16_e32 v24, 0xb70e, v8
	v_fmac_f16_e32 v25, 0xb70e, v1
	v_add_f16_e32 v23, v23, v4
	v_add_f16_e32 v26, v26, v5
	;; [unrolled: 1-line block ×4, first 2 shown]
	v_fmac_f16_e32 v7, 0xb70e, v8
	v_fmac_f16_e32 v3, 0xb70e, v1
	;; [unrolled: 1-line block ×4, first 2 shown]
	v_add_f16_e32 v1, v25, v6
	v_sub_f16_e32 v8, v21, v24
	v_add_f16_e32 v9, v3, v4
	v_sub_f16_e32 v11, v5, v22
	v_sub_f16_e32 v36, v23, v2
	v_add_f16_e32 v37, v7, v26
	v_add_f16_e32 v2, v2, v23
	v_sub_f16_e32 v7, v26, v7
	v_sub_f16_e32 v3, v4, v3
	v_add_f16_e32 v4, v22, v5
	v_sub_f16_e32 v5, v6, v25
	v_add_f16_e32 v6, v24, v21
	v_pack_b32_f16 v0, v10, v0
	v_pack_b32_f16 v1, v1, v8
	;; [unrolled: 1-line block ×7, first 2 shown]
	ds_write2_b32 v29, v0, v1 offset1:245
	ds_write2_b32 v27, v8, v9 offset0:10 offset1:255
	ds_write2_b32 v28, v2, v3 offset0:4 offset1:249
	ds_write_b32 v29, v4 offset:5880
	s_waitcnt lgkmcnt(0)
	s_barrier
	buffer_gl0_inv
	ds_read_b32 v2, v29
	ds_read_b32 v10, v29 offset:1372
	ds_read_b32 v21, v29 offset:2744
	;; [unrolled: 1-line block ×4, first 2 shown]
	s_waitcnt lgkmcnt(4)
	v_lshrrev_b32_e32 v3, 16, v2
	s_waitcnt lgkmcnt(3)
	v_lshrrev_b32_e32 v24, 16, v10
	v_mul_f16_sdwa v0, v35, v3 dst_sel:DWORD dst_unused:UNUSED_PAD src0_sel:WORD_1 src1_sel:DWORD
	v_mul_f16_sdwa v9, v34, v24 dst_sel:DWORD dst_unused:UNUSED_PAD src0_sel:WORD_1 src1_sel:DWORD
	v_fmac_f16_e32 v0, v35, v2
	v_mul_f16_sdwa v2, v35, v2 dst_sel:DWORD dst_unused:UNUSED_PAD src0_sel:WORD_1 src1_sel:DWORD
	v_fmac_f16_e32 v9, v34, v10
	v_cvt_f32_f16_e32 v0, v0
	v_fma_f16 v2, v35, v3, -v2
	v_cvt_f64_f32_e32 v[0:1], v0
	v_cvt_f32_f16_e32 v2, v2
	v_cvt_f64_f32_e32 v[2:3], v2
	v_mul_f64 v[0:1], v[0:1], s[4:5]
	v_mul_f64 v[2:3], v[2:3], s[4:5]
	v_and_or_b32 v0, 0x1ff, v1, v0
	v_lshrrev_b32_e32 v4, 8, v1
	v_bfe_u32 v6, v1, 20, 11
	v_cmp_ne_u32_e64 s0, 0, v0
	v_and_or_b32 v2, 0x1ff, v3, v2
	v_add_nc_u32_e32 v26, 0xfffffc10, v6
	v_bfe_u32 v27, v3, 20, 11
	v_cndmask_b32_e64 v0, 0, 1, s0
	v_and_or_b32 v11, 0xffe, v4, v0
	v_sub_nc_u32_e32 v0, 0x3f1, v6
	v_mad_u64_u32 v[4:5], null, s10, v18, 0
	v_or_b32_e32 v7, 0x1000, v11
	v_med3_i32 v0, v0, 0, 13
	v_lshl_or_b32 v28, v26, 12, v11
	v_lshrrev_b32_e32 v8, v0, v7
	v_lshlrev_b32_e32 v0, v0, v8
	v_cmp_ne_u32_e64 s0, v0, v7
	v_cvt_f32_f16_e32 v0, v9
	v_lshrrev_b32_e32 v9, 8, v3
	v_lshrrev_b32_e32 v3, 16, v3
	v_cndmask_b32_e64 v25, 0, 1, s0
	v_cmp_ne_u32_e64 s0, 0, v2
	v_cvt_f64_f32_e32 v[6:7], v0
	v_mov_b32_e32 v0, v5
	v_or_b32_e32 v5, v8, v25
	v_cndmask_b32_e64 v2, 0, 1, s0
	v_sub_nc_u32_e32 v25, 0x3f1, v27
	v_cmp_gt_i32_e64 s0, 1, v26
	v_and_or_b32 v2, 0xffe, v9, v2
	v_mad_u64_u32 v[8:9], null, s11, v18, v[0:1]
	v_med3_i32 v9, v25, 0, 13
	v_cndmask_b32_e64 v18, v28, v5, s0
	v_or_b32_e32 v0, 0x1000, v2
	v_lshrrev_b32_e32 v1, 16, v1
	v_and_b32_e32 v28, 7, v18
	v_lshrrev_b32_e32 v25, v9, v0
	v_mov_b32_e32 v5, v8
	v_mul_f64 v[6:7], v[6:7], s[4:5]
	v_cmp_lt_i32_e64 s0, 5, v28
	v_lshlrev_b32_e32 v8, v9, v25
	v_cmp_eq_u32_e64 s1, 3, v28
	v_lshrrev_b32_e32 v9, 2, v18
	v_add_nc_u32_e32 v18, 0xfffffc10, v27
	s_waitcnt lgkmcnt(2)
	v_lshrrev_b32_e32 v27, 16, v21
	v_cmp_ne_u32_e64 s2, v8, v0
	s_or_b32 s0, s1, s0
	v_mul_f16_sdwa v8, v34, v10 dst_sel:DWORD dst_unused:UNUSED_PAD src0_sel:WORD_1 src1_sel:DWORD
	v_add_co_ci_u32_e64 v9, s0, 0, v9, s0
	v_cndmask_b32_e64 v0, 0, 1, s2
	v_cmp_ne_u32_e64 s0, 0, v11
	v_lshl_or_b32 v10, v18, 12, v2
	v_fma_f16 v8, v34, v24, -v8
	v_mul_f16_sdwa v34, v33, v27 dst_sel:DWORD dst_unused:UNUSED_PAD src0_sel:WORD_1 src1_sel:DWORD
	v_or_b32_e32 v0, v25, v0
	v_cndmask_b32_e64 v11, 0, 1, s0
	v_cmp_gt_i32_e64 s0, 1, v18
	v_cvt_f32_f16_e32 v8, v8
	v_fmac_f16_e32 v34, v33, v21
	v_and_or_b32 v6, 0x1ff, v7, v6
	v_lshl_or_b32 v11, v11, 9, 0x7c00
	v_cndmask_b32_e64 v0, v10, v0, s0
	v_cmp_gt_i32_e64 s0, 31, v26
	v_bfe_u32 v25, v7, 20, 11
	v_cmp_ne_u32_e64 s1, 0, v6
	v_mul_f16_sdwa v21, v33, v21 dst_sel:DWORD dst_unused:UNUSED_PAD src0_sel:WORD_1 src1_sel:DWORD
	v_and_b32_e32 v24, 7, v0
	v_cndmask_b32_e64 v10, 0x7c00, v9, s0
	v_cvt_f64_f32_e32 v[8:9], v8
	v_cmp_eq_u32_e64 s0, 0x40f, v26
	v_cndmask_b32_e64 v6, 0, 1, s1
	v_cmp_eq_u32_e64 s1, 3, v24
	v_lshrrev_b32_e32 v0, 2, v0
	v_cndmask_b32_e64 v10, v10, v11, s0
	v_lshrrev_b32_e32 v11, 8, v7
	v_cmp_lt_i32_e64 s0, 5, v24
	v_and_or_b32 v24, 0x8000, v1, v10
	v_and_or_b32 v6, 0xffe, v11, v6
	v_sub_nc_u32_e32 v1, 0x3f1, v25
	s_or_b32 s0, s1, s0
	v_add_co_ci_u32_e64 v10, s0, 0, v0, s0
	v_cmp_ne_u32_e64 s0, 0, v2
	v_or_b32_e32 v11, 0x1000, v6
	v_med3_i32 v26, v1, 0, 13
	v_mul_f64 v[0:1], v[8:9], s[4:5]
	v_cndmask_b32_e64 v2, 0, 1, s0
	v_cmp_gt_i32_e64 s0, 31, v18
	v_lshrrev_b32_e32 v28, v26, v11
	v_mad_u64_u32 v[8:9], null, s8, v31, 0
	v_lshl_or_b32 v2, v2, 9, 0x7c00
	v_cndmask_b32_e64 v10, 0x7c00, v10, s0
	v_lshlrev_b32_e32 v26, v26, v28
	v_cmp_eq_u32_e64 s0, 0x40f, v18
	v_add_nc_u32_e32 v18, 0xfffffc10, v25
	v_cndmask_b32_e64 v2, v10, v2, s0
	v_cmp_ne_u32_e64 s0, v26, v11
	v_cvt_f32_f16_e32 v11, v34
	v_lshl_or_b32 v26, v18, 12, v6
	v_and_or_b32 v25, 0x8000, v3, v2
	v_cndmask_b32_e64 v10, 0, 1, s0
	v_mov_b32_e32 v2, v9
	v_and_or_b32 v0, 0x1ff, v1, v0
	v_cmp_gt_i32_e64 s0, 1, v18
	v_or_b32_e32 v9, v28, v10
	v_cvt_f64_f32_e32 v[10:11], v11
	v_mad_u64_u32 v[2:3], null, s9, v31, v[2:3]
	v_and_b32_e32 v3, 0xffff, v24
	v_cndmask_b32_e64 v24, v26, v9, s0
	v_cmp_ne_u32_e64 s0, 0, v0
	v_lshrrev_b32_e32 v26, 8, v1
	v_bfe_u32 v28, v1, 20, 11
	v_lshl_or_b32 v25, v25, 16, v3
	v_mov_b32_e32 v9, v2
	v_cndmask_b32_e64 v0, 0, 1, s0
	v_lshlrev_b64 v[2:3], 2, v[4:5]
	v_and_b32_e32 v31, 7, v24
	v_lshrrev_b32_e32 v24, 2, v24
	v_lshrrev_b32_e32 v1, 16, v1
	v_and_or_b32 v0, 0xffe, v26, v0
	v_sub_nc_u32_e32 v26, 0x3f1, v28
	v_cmp_lt_i32_e64 s0, 5, v31
	v_cmp_eq_u32_e64 s1, 3, v31
	v_or_b32_e32 v31, 0x1000, v0
	v_med3_i32 v26, v26, 0, 13
	v_mul_f64 v[4:5], v[10:11], s[4:5]
	v_add_co_u32 v10, s2, s6, v2
	v_add_co_ci_u32_e64 v11, s2, s7, v3, s2
	v_lshlrev_b64 v[2:3], 2, v[8:9]
	s_or_b32 s0, s1, s0
	v_lshrrev_b32_e32 v34, v26, v31
	v_add_co_ci_u32_e64 v8, s0, 0, v24, s0
	s_mul_i32 s2, s8, 0x157
	v_add_co_u32 v2, s0, v10, v2
	v_add_co_ci_u32_e64 v3, s0, v11, v3, s0
	v_lshlrev_b32_e32 v9, v26, v34
	v_cmp_gt_i32_e64 s0, 31, v18
	v_add_nc_u32_e32 v11, 0xfffffc10, v28
	s_waitcnt lgkmcnt(1)
	v_lshrrev_b32_e32 v28, 16, v22
	v_cndmask_b32_e64 v10, 0x7c00, v8, s0
	v_cmp_ne_u32_e64 s0, v9, v31
	v_fma_f16 v8, v33, v27, -v21
	v_and_or_b32 v4, 0x1ff, v5, v4
	v_lshl_or_b32 v24, v11, 12, v0
	v_lshrrev_b32_e32 v26, 8, v5
	v_cndmask_b32_e64 v9, 0, 1, s0
	v_cmp_ne_u32_e64 s0, 0, v6
	v_cvt_f32_f16_e32 v8, v8
	v_bfe_u32 v27, v5, 20, 11
	v_mul_f16_sdwa v33, v32, v28 dst_sel:DWORD dst_unused:UNUSED_PAD src0_sel:WORD_1 src1_sel:DWORD
	v_or_b32_e32 v21, v34, v9
	v_cndmask_b32_e64 v6, 0, 1, s0
	v_cmp_ne_u32_e64 s0, 0, v4
	v_cvt_f64_f32_e32 v[8:9], v8
	v_fmac_f16_e32 v33, v32, v22
	v_lshl_or_b32 v6, v6, 9, 0x7c00
	v_cndmask_b32_e64 v4, 0, 1, s0
	v_cmp_gt_i32_e64 s0, 1, v11
	v_and_or_b32 v4, 0xffe, v26, v4
	v_cndmask_b32_e64 v21, v24, v21, s0
	v_cmp_eq_u32_e64 s0, 0x40f, v18
	v_sub_nc_u32_e32 v24, 0x3f1, v27
	v_lshrrev_b32_e32 v18, 16, v7
	v_or_b32_e32 v26, 0x1000, v4
	v_cndmask_b32_e64 v10, v10, v6, s0
	v_and_b32_e32 v6, 7, v21
	v_lshrrev_b32_e32 v21, 2, v21
	v_med3_i32 v24, v24, 0, 13
	v_and_or_b32 v10, 0x8000, v18, v10
	v_cmp_lt_i32_e64 s0, 5, v6
	v_cmp_eq_u32_e64 s1, 3, v6
	v_mul_f64 v[6:7], v[8:9], s[4:5]
	v_lshrrev_b32_e32 v31, v24, v26
	v_and_b32_e32 v10, 0xffff, v10
	s_or_b32 s0, s1, s0
	s_mul_i32 s1, s9, 0x157
	v_add_co_ci_u32_e64 v8, s0, 0, v21, s0
	v_cmp_ne_u32_e64 s0, 0, v0
	v_lshlrev_b32_e32 v9, v24, v31
	v_cndmask_b32_e64 v0, 0, 1, s0
	v_cmp_gt_i32_e64 s0, 31, v11
	v_lshl_or_b32 v0, v0, 9, 0x7c00
	v_cndmask_b32_e64 v21, 0x7c00, v8, s0
	v_cmp_ne_u32_e64 s0, v9, v26
	v_cvt_f32_f16_e32 v8, v33
	v_add_nc_u32_e32 v26, 0xfffffc10, v27
	v_and_or_b32 v6, 0x1ff, v7, v6
	v_cndmask_b32_e64 v24, 0, 1, s0
	v_cmp_eq_u32_e64 s0, 0x40f, v11
	v_cvt_f64_f32_e32 v[8:9], v8
	v_lshl_or_b32 v18, v26, 12, v4
	v_or_b32_e32 v11, v31, v24
	v_cndmask_b32_e64 v0, v21, v0, s0
	v_cmp_gt_i32_e64 s0, 1, v26
	v_and_or_b32 v21, 0x8000, v1, v0
	v_cndmask_b32_e64 v11, v18, v11, s0
	v_cmp_ne_u32_e64 s0, 0, v6
	v_lshrrev_b32_e32 v1, 8, v7
	v_bfe_u32 v6, v7, 20, 11
	v_and_b32_e32 v18, 7, v11
	v_cndmask_b32_e64 v0, 0, 1, s0
	s_mul_hi_u32 s0, s8, 0x157
	v_sub_nc_u32_e32 v27, 0x3f1, v6
	s_add_i32 s3, s0, s1
	v_cmp_lt_i32_e64 s0, 5, v18
	v_and_or_b32 v24, 0xffe, v1, v0
	v_cmp_eq_u32_e64 s1, 3, v18
	v_mul_f64 v[0:1], v[8:9], s[4:5]
	v_lshrrev_b32_e32 v11, 2, v11
	v_med3_i32 v9, v27, 0, 13
	v_or_b32_e32 v8, 0x1000, v24
	s_or_b32 s0, s1, s0
	v_lshl_or_b32 v18, v21, 16, v10
	v_add_co_ci_u32_e64 v11, s0, 0, v11, s0
	v_lshrrev_b32_e32 v10, v9, v8
	v_cmp_ne_u32_e64 s0, 0, v4
	v_mul_f16_sdwa v21, v32, v22 dst_sel:DWORD dst_unused:UNUSED_PAD src0_sel:WORD_1 src1_sel:DWORD
	v_add_nc_u32_e32 v6, 0xfffffc10, v6
	s_lshl_b64 s[6:7], s[2:3], 2
	v_lshlrev_b32_e32 v9, v9, v10
	v_cndmask_b32_e64 v4, 0, 1, s0
	v_cmp_gt_i32_e64 s0, 31, v26
	v_lshl_or_b32 v4, v4, 9, 0x7c00
	v_cndmask_b32_e64 v11, 0x7c00, v11, s0
	v_cmp_ne_u32_e64 s0, v9, v8
	v_and_or_b32 v0, 0x1ff, v1, v0
	v_fma_f16 v9, v32, v28, -v21
	v_lshrrev_b32_e32 v21, 8, v1
	v_bfe_u32 v22, v1, 20, 11
	v_cndmask_b32_e64 v8, 0, 1, s0
	v_cmp_eq_u32_e64 s0, 0x40f, v26
	v_lshrrev_b32_e32 v26, 16, v5
	v_lshrrev_b32_e32 v1, 16, v1
	v_cndmask_b32_e64 v11, v11, v4, s0
	v_cmp_ne_u32_e64 s0, 0, v0
	v_or_b32_e32 v4, v10, v8
	v_cvt_f32_f16_e32 v8, v9
	v_lshl_or_b32 v10, v6, 12, v24
	v_and_or_b32 v26, 0x8000, v26, v11
	v_cndmask_b32_e64 v0, 0, 1, s0
	v_cmp_gt_i32_e64 s0, 1, v6
	v_cvt_f64_f32_e32 v[8:9], v8
	v_and_or_b32 v0, 0xffe, v21, v0
	v_cndmask_b32_e64 v10, v10, v4, s0
	v_sub_nc_u32_e32 v4, 0x3f1, v22
	s_waitcnt lgkmcnt(0)
	v_lshrrev_b32_e32 v21, 16, v23
	v_add_nc_u32_e32 v22, 0xfffffc10, v22
	v_or_b32_e32 v28, 0x1000, v0
	v_and_b32_e32 v27, 7, v10
	v_med3_i32 v31, v4, 0, 13
	v_mul_f16_sdwa v32, v30, v21 dst_sel:DWORD dst_unused:UNUSED_PAD src0_sel:WORD_1 src1_sel:DWORD
	v_add_co_u32 v4, s0, v2, s6
	v_add_co_ci_u32_e64 v5, s0, s7, v3, s0
	v_lshrrev_b32_e32 v33, v31, v28
	v_fmac_f16_e32 v32, v30, v23
	v_cmp_lt_i32_e64 s0, 5, v27
	v_cmp_eq_u32_e64 s1, 3, v27
	v_lshrrev_b32_e32 v10, 2, v10
	v_lshlrev_b32_e32 v27, v31, v33
	v_cvt_f32_f16_e32 v11, v32
	v_mul_f64 v[8:9], v[8:9], s[4:5]
	s_or_b32 s0, s1, s0
	v_mul_f16_sdwa v23, v30, v23 dst_sel:DWORD dst_unused:UNUSED_PAD src0_sel:WORD_1 src1_sel:DWORD
	v_add_co_ci_u32_e64 v31, s0, 0, v10, s0
	v_cmp_ne_u32_e64 s0, v27, v28
	v_cvt_f64_f32_e32 v[10:11], v11
	v_lshl_or_b32 v28, v22, 12, v0
	v_fma_f16 v21, v30, v21, -v23
	v_cndmask_b32_e64 v27, 0, 1, s0
	v_cmp_ne_u32_e64 s0, 0, v24
	v_cvt_f32_f16_e32 v21, v21
	v_or_b32_e32 v27, v33, v27
	v_cndmask_b32_e64 v24, 0, 1, s0
	v_cmp_gt_i32_e64 s0, 31, v6
	v_lshl_or_b32 v24, v24, 9, 0x7c00
	v_cndmask_b32_e64 v23, 0x7c00, v31, s0
	v_cmp_gt_i32_e64 s0, 1, v22
	v_and_or_b32 v8, 0x1ff, v9, v8
	v_bfe_u32 v30, v9, 20, 11
	v_cndmask_b32_e64 v27, v28, v27, s0
	v_cmp_eq_u32_e64 s0, 0x40f, v6
	v_mul_f64 v[10:11], v[10:11], s[4:5]
	v_lshrrev_b32_e32 v28, 8, v9
	v_lshrrev_b32_e32 v9, 16, v9
	v_cndmask_b32_e64 v23, v23, v24, s0
	v_lshrrev_b32_e32 v24, 16, v7
	v_cvt_f64_f32_e32 v[6:7], v21
	v_cmp_ne_u32_e64 s0, 0, v8
	v_and_b32_e32 v21, 7, v27
	v_and_or_b32 v23, 0x8000, v24, v23
	v_and_b32_e32 v24, 0xffff, v26
	v_cndmask_b32_e64 v8, 0, 1, s0
	v_cmp_lt_i32_e64 s0, 5, v21
	v_cmp_eq_u32_e64 s1, 3, v21
	v_sub_nc_u32_e32 v26, 0x3f1, v30
	v_lshl_or_b32 v21, v23, 16, v24
	v_lshrrev_b32_e32 v23, 2, v27
	v_and_or_b32 v8, 0xffe, v28, v8
	s_or_b32 s0, s1, s0
	v_med3_i32 v26, v26, 0, 13
	v_add_co_ci_u32_e64 v23, s0, 0, v23, s0
	v_or_b32_e32 v24, 0x1000, v8
	v_cmp_ne_u32_e64 s0, 0, v0
	v_and_or_b32 v10, 0x1ff, v11, v10
	v_lshrrev_b32_e32 v28, 8, v11
	v_mul_f64 v[6:7], v[6:7], s[4:5]
	v_lshrrev_b32_e32 v27, v26, v24
	v_cndmask_b32_e64 v0, 0, 1, s0
	v_cmp_gt_i32_e64 s0, 31, v22
	v_bfe_u32 v31, v11, 20, 11
	v_lshrrev_b32_e32 v11, 16, v11
	v_lshlrev_b32_e32 v26, v26, v27
	v_lshl_or_b32 v0, v0, 9, 0x7c00
	v_cndmask_b32_e64 v23, 0x7c00, v23, s0
	v_cmp_ne_u32_e64 s0, 0, v10
	v_cndmask_b32_e64 v10, 0, 1, s0
	v_cmp_ne_u32_e64 s0, v26, v24
	v_add_nc_u32_e32 v26, 0xfffffc10, v30
	v_and_or_b32 v10, 0xffe, v28, v10
	v_cndmask_b32_e64 v24, 0, 1, s0
	v_sub_nc_u32_e32 v28, 0x3f1, v31
	v_cmp_eq_u32_e64 s0, 0x40f, v22
	v_and_or_b32 v6, 0x1ff, v7, v6
	v_bfe_u32 v30, v7, 20, 11
	v_or_b32_e32 v22, v27, v24
	v_or_b32_e32 v24, 0x1000, v10
	v_cndmask_b32_e64 v0, v23, v0, s0
	v_lshl_or_b32 v23, v26, 12, v8
	v_med3_i32 v27, v28, 0, 13
	v_cmp_gt_i32_e64 s0, 1, v26
	v_lshrrev_b32_e32 v28, 8, v7
	v_and_or_b32 v0, 0x8000, v1, v0
	v_cndmask_b32_e64 v22, v23, v22, s0
	v_lshrrev_b32_e32 v23, v27, v24
	v_cmp_ne_u32_e64 s0, 0, v6
	v_and_b32_e32 v0, 0xffff, v0
	v_and_b32_e32 v32, 7, v22
	v_lshlrev_b32_e32 v27, v27, v23
	v_cndmask_b32_e64 v6, 0, 1, s0
	v_lshrrev_b32_e32 v22, 2, v22
	v_cmp_lt_i32_e64 s0, 5, v32
	v_cmp_ne_u32_e64 s1, v27, v24
	v_and_or_b32 v1, 0xffe, v28, v6
	v_sub_nc_u32_e32 v6, 0x3f1, v30
	v_add_nc_u32_e32 v28, 0xfffffc10, v31
	v_cndmask_b32_e64 v24, 0, 1, s1
	v_cmp_eq_u32_e64 s1, 3, v32
	v_or_b32_e32 v27, 0x1000, v1
	v_med3_i32 v6, v6, 0, 13
	v_lshl_or_b32 v31, v28, 12, v10
	v_or_b32_e32 v23, v23, v24
	s_or_b32 s0, s1, s0
	v_add_co_ci_u32_e64 v22, s0, 0, v22, s0
	v_lshrrev_b32_e32 v24, v6, v27
	v_cmp_gt_i32_e64 s0, 1, v28
	v_lshlrev_b32_e32 v6, v6, v24
	v_cndmask_b32_e64 v23, v31, v23, s0
	v_cmp_ne_u32_e64 s0, 0, v8
	v_cndmask_b32_e64 v8, 0, 1, s0
	v_cmp_ne_u32_e64 s0, v6, v27
	v_add_nc_u32_e32 v27, 0xfffffc10, v30
	v_and_b32_e32 v30, 7, v23
	v_lshl_or_b32 v8, v8, 9, 0x7c00
	v_cndmask_b32_e64 v6, 0, 1, s0
	v_cmp_gt_i32_e64 s0, 31, v26
	v_cmp_gt_i32_e64 s2, 1, v27
	v_cmp_eq_u32_e64 s1, 3, v30
	v_or_b32_e32 v6, v24, v6
	v_lshl_or_b32 v24, v27, 12, v1
	v_cndmask_b32_e64 v22, 0x7c00, v22, s0
	v_cmp_lt_i32_e64 s0, 5, v30
	v_cndmask_b32_e64 v6, v24, v6, s2
	v_cmp_eq_u32_e64 s2, 0x40f, v26
	s_or_b32 s0, s1, s0
	v_cndmask_b32_e64 v8, v22, v8, s2
	v_lshrrev_b32_e32 v22, 2, v23
	v_and_b32_e32 v23, 7, v6
	v_lshrrev_b32_e32 v6, 2, v6
	v_cmp_gt_i32_e64 s2, 31, v28
	v_and_or_b32 v8, 0x8000, v9, v8
	v_add_co_ci_u32_e64 v22, s0, 0, v22, s0
	v_cmp_ne_u32_e64 s0, 0, v10
	v_cmp_eq_u32_e64 s1, 3, v23
	v_cndmask_b32_e64 v22, 0x7c00, v22, s2
	v_cndmask_b32_e64 v10, 0, 1, s0
	v_cmp_lt_i32_e64 s0, 5, v23
	v_lshl_or_b32 v10, v10, 9, 0x7c00
	s_or_b32 s0, s1, s0
	v_add_co_ci_u32_e64 v6, s0, 0, v6, s0
	v_cmp_ne_u32_e64 s0, 0, v1
	v_cndmask_b32_e64 v1, 0, 1, s0
	v_cmp_eq_u32_e64 s0, 0x40f, v28
	v_lshl_or_b32 v1, v1, 9, 0x7c00
	v_cndmask_b32_e64 v10, v22, v10, s0
	v_cmp_gt_i32_e64 s0, 31, v27
	v_and_or_b32 v9, 0x8000, v11, v10
	v_cndmask_b32_e64 v6, 0x7c00, v6, s0
	v_cmp_eq_u32_e64 s0, 0x40f, v27
	v_lshrrev_b32_e32 v10, 16, v7
	v_lshl_or_b32 v11, v8, 16, v0
	v_cndmask_b32_e64 v1, v6, v1, s0
	v_add_co_u32 v6, s0, v4, s6
	v_add_co_ci_u32_e64 v7, s0, s7, v5, s0
	v_and_or_b32 v0, 0x8000, v10, v1
	v_and_b32_e32 v1, 0xffff, v9
	v_add_co_u32 v8, s0, v6, s6
	v_add_co_ci_u32_e64 v9, s0, s7, v7, s0
	v_lshl_or_b32 v10, v0, 16, v1
	v_add_co_u32 v0, s0, v8, s6
	v_add_co_ci_u32_e64 v1, s0, s7, v9, s0
	global_store_dword v[2:3], v25, off
	global_store_dword v[4:5], v18, off
	;; [unrolled: 1-line block ×5, first 2 shown]
	s_and_b32 exec_lo, exec_lo, vcc_lo
	s_cbranch_execz .LBB0_15
; %bb.14:
	s_clause 0x4
	global_load_dword v4, v[16:17], off offset:980
	global_load_dword v5, v[14:15], off offset:304
	;; [unrolled: 1-line block ×5, first 2 shown]
	ds_read_b32 v6, v29 offset:980
	ds_read_b32 v7, v29 offset:2352
	;; [unrolled: 1-line block ×5, first 2 shown]
	v_mad_u64_u32 v[0:1], null, 0xffffee64, s8, v[0:1]
	s_mul_i32 s0, s9, 0xffffee64
	s_sub_i32 s0, s0, s8
	v_add_nc_u32_e32 v1, s0, v1
	v_add_co_u32 v2, vcc_lo, v0, s6
	v_add_co_ci_u32_e32 v3, vcc_lo, s7, v1, vcc_lo
	s_waitcnt lgkmcnt(4)
	v_lshrrev_b32_e32 v14, 16, v6
	s_waitcnt lgkmcnt(3)
	v_lshrrev_b32_e32 v15, 16, v7
	;; [unrolled: 2-line block ×5, first 2 shown]
	s_waitcnt vmcnt(4)
	v_mul_f16_sdwa v19, v14, v4 dst_sel:DWORD dst_unused:UNUSED_PAD src0_sel:DWORD src1_sel:WORD_1
	v_mul_f16_sdwa v20, v6, v4 dst_sel:DWORD dst_unused:UNUSED_PAD src0_sel:DWORD src1_sel:WORD_1
	s_waitcnt vmcnt(3)
	v_mul_f16_sdwa v21, v15, v5 dst_sel:DWORD dst_unused:UNUSED_PAD src0_sel:DWORD src1_sel:WORD_1
	v_mul_f16_sdwa v22, v7, v5 dst_sel:DWORD dst_unused:UNUSED_PAD src0_sel:DWORD src1_sel:WORD_1
	s_waitcnt vmcnt(2)
	v_mul_f16_sdwa v23, v16, v8 dst_sel:DWORD dst_unused:UNUSED_PAD src0_sel:DWORD src1_sel:WORD_1
	v_fmac_f16_e32 v19, v6, v4
	v_fma_f16 v4, v4, v14, -v20
	v_fmac_f16_e32 v21, v7, v5
	v_fma_f16 v15, v5, v15, -v22
	v_mul_f16_sdwa v24, v11, v8 dst_sel:DWORD dst_unused:UNUSED_PAD src0_sel:DWORD src1_sel:WORD_1
	v_cvt_f32_f16_e32 v6, v19
	v_cvt_f32_f16_e32 v7, v4
	s_waitcnt vmcnt(1)
	v_mul_f16_sdwa v25, v17, v9 dst_sel:DWORD dst_unused:UNUSED_PAD src0_sel:DWORD src1_sel:WORD_1
	v_mul_f16_sdwa v26, v12, v9 dst_sel:DWORD dst_unused:UNUSED_PAD src0_sel:DWORD src1_sel:WORD_1
	v_fmac_f16_e32 v23, v11, v8
	v_cvt_f64_f32_e32 v[4:5], v6
	v_cvt_f32_f16_e32 v11, v21
	v_cvt_f64_f32_e32 v[6:7], v7
	s_waitcnt vmcnt(0)
	v_mul_f16_sdwa v14, v18, v10 dst_sel:DWORD dst_unused:UNUSED_PAD src0_sel:DWORD src1_sel:WORD_1
	v_mul_f16_sdwa v20, v13, v10 dst_sel:DWORD dst_unused:UNUSED_PAD src0_sel:DWORD src1_sel:WORD_1
	v_fma_f16 v16, v8, v16, -v24
	v_fmac_f16_e32 v25, v12, v9
	v_fma_f16 v12, v9, v17, -v26
	v_cvt_f32_f16_e32 v15, v15
	v_cvt_f64_f32_e32 v[8:9], v11
	v_fmac_f16_e32 v14, v13, v10
	v_fma_f16 v13, v10, v18, -v20
	v_cvt_f32_f16_e32 v17, v23
	v_cvt_f64_f32_e32 v[10:11], v15
	v_cvt_f32_f16_e32 v16, v16
	v_cvt_f32_f16_e32 v19, v12
	;; [unrolled: 1-line block ×3, first 2 shown]
	v_cvt_f64_f32_e32 v[12:13], v17
	v_cvt_f32_f16_e32 v18, v25
	v_cvt_f32_f16_e32 v20, v14
	v_cvt_f64_f32_e32 v[14:15], v16
	v_add_co_u32 v24, vcc_lo, v2, s6
	v_mul_f64 v[4:5], v[4:5], s[4:5]
	v_mul_f64 v[6:7], v[6:7], s[4:5]
	v_cvt_f64_f32_e32 v[16:17], v18
	v_cvt_f64_f32_e32 v[18:19], v19
	v_add_co_ci_u32_e32 v25, vcc_lo, s7, v3, vcc_lo
	v_cvt_f64_f32_e32 v[20:21], v20
	v_add_co_u32 v26, vcc_lo, v24, s6
	v_mul_f64 v[8:9], v[8:9], s[4:5]
	v_add_co_ci_u32_e32 v27, vcc_lo, s7, v25, vcc_lo
	v_mul_f64 v[10:11], v[10:11], s[4:5]
	v_cvt_f64_f32_e32 v[22:23], v22
	v_add_co_u32 v28, vcc_lo, v26, s6
	v_mul_f64 v[12:13], v[12:13], s[4:5]
	v_add_co_ci_u32_e32 v29, vcc_lo, s7, v27, vcc_lo
	v_mul_f64 v[14:15], v[14:15], s[4:5]
	v_and_or_b32 v4, 0x1ff, v5, v4
	v_and_or_b32 v6, 0x1ff, v7, v6
	v_mul_f64 v[16:17], v[16:17], s[4:5]
	v_mul_f64 v[18:19], v[18:19], s[4:5]
	v_lshrrev_b32_e32 v30, 8, v5
	v_cmp_ne_u32_e32 vcc_lo, 0, v4
	v_mul_f64 v[20:21], v[20:21], s[4:5]
	v_bfe_u32 v31, v5, 20, 11
	v_lshrrev_b32_e32 v32, 8, v7
	v_and_or_b32 v8, 0x1ff, v9, v8
	v_cndmask_b32_e64 v4, 0, 1, vcc_lo
	v_cmp_ne_u32_e32 vcc_lo, 0, v6
	v_and_or_b32 v10, 0x1ff, v11, v10
	v_mul_f64 v[22:23], v[22:23], s[4:5]
	v_bfe_u32 v33, v7, 20, 11
	v_and_or_b32 v4, 0xffe, v30, v4
	v_cndmask_b32_e64 v6, 0, 1, vcc_lo
	v_cmp_ne_u32_e32 vcc_lo, 0, v8
	v_and_or_b32 v12, 0x1ff, v13, v12
	v_and_or_b32 v14, 0x1ff, v15, v14
	v_lshrrev_b32_e32 v34, 8, v9
	v_bfe_u32 v35, v9, 20, 11
	v_cndmask_b32_e64 v8, 0, 1, vcc_lo
	v_cmp_ne_u32_e32 vcc_lo, 0, v10
	v_and_or_b32 v16, 0x1ff, v17, v16
	v_and_or_b32 v18, 0x1ff, v19, v18
	v_bfe_u32 v37, v11, 20, 11
	v_sub_nc_u32_e32 v50, 0x3f1, v31
	v_cndmask_b32_e64 v10, 0, 1, vcc_lo
	v_cmp_ne_u32_e32 vcc_lo, 0, v12
	v_and_or_b32 v20, 0x1ff, v21, v20
	v_add_nc_u32_e32 v31, 0xfffffc10, v31
	v_sub_nc_u32_e32 v51, 0x3f1, v33
	v_and_or_b32 v6, 0xffe, v32, v6
	v_cndmask_b32_e64 v12, 0, 1, vcc_lo
	v_cmp_ne_u32_e32 vcc_lo, 0, v14
	v_and_or_b32 v22, 0x1ff, v23, v22
	v_lshrrev_b32_e32 v36, 8, v11
	v_bfe_u32 v39, v13, 20, 11
	v_bfe_u32 v41, v15, 20, 11
	v_cndmask_b32_e64 v14, 0, 1, vcc_lo
	v_cmp_ne_u32_e32 vcc_lo, 0, v16
	v_add_nc_u32_e32 v33, 0xfffffc10, v33
	v_sub_nc_u32_e32 v52, 0x3f1, v35
	v_sub_nc_u32_e32 v53, 0x3f1, v37
	v_med3_i32 v30, v50, 0, 13
	v_cndmask_b32_e64 v16, 0, 1, vcc_lo
	v_cmp_ne_u32_e32 vcc_lo, 0, v18
	v_med3_i32 v32, v51, 0, 13
	v_and_or_b32 v8, 0xffe, v34, v8
	v_or_b32_e32 v50, 0x1000, v4
	v_lshl_or_b32 v51, v31, 12, v4
	v_cndmask_b32_e64 v18, 0, 1, vcc_lo
	v_cmp_ne_u32_e32 vcc_lo, 0, v20
	v_lshrrev_b32_e32 v38, 8, v13
	v_lshrrev_b32_e32 v40, 8, v15
	v_bfe_u32 v43, v17, 20, 11
	v_bfe_u32 v45, v19, 20, 11
	v_cndmask_b32_e64 v20, 0, 1, vcc_lo
	v_cmp_ne_u32_e32 vcc_lo, 0, v22
	v_add_nc_u32_e32 v35, 0xfffffc10, v35
	v_sub_nc_u32_e32 v54, 0x3f1, v39
	v_sub_nc_u32_e32 v55, 0x3f1, v41
	v_med3_i32 v34, v52, 0, 13
	v_cndmask_b32_e64 v22, 0, 1, vcc_lo
	v_cmp_ne_u32_e32 vcc_lo, 0, v4
	v_and_or_b32 v10, 0xffe, v36, v10
	v_med3_i32 v36, v53, 0, 13
	v_or_b32_e32 v52, 0x1000, v6
	v_lshl_or_b32 v53, v33, 12, v6
	v_cndmask_b32_e64 v4, 0, 1, vcc_lo
	v_cmp_ne_u32_e32 vcc_lo, 0, v6
	v_lshrrev_b32_e32 v42, 8, v17
	v_lshrrev_b32_e32 v44, 8, v19
	v_bfe_u32 v47, v21, 20, 11
	v_bfe_u32 v49, v23, 20, 11
	v_cndmask_b32_e64 v6, 0, 1, vcc_lo
	v_cmp_ne_u32_e32 vcc_lo, 0, v8
	v_add_nc_u32_e32 v37, 0xfffffc10, v37
	v_sub_nc_u32_e32 v56, 0x3f1, v43
	v_sub_nc_u32_e32 v57, 0x3f1, v45
	v_and_or_b32 v12, 0xffe, v38, v12
	v_med3_i32 v38, v54, 0, 13
	v_and_or_b32 v14, 0xffe, v40, v14
	v_med3_i32 v40, v55, 0, 13
	v_or_b32_e32 v54, 0x1000, v8
	v_lshl_or_b32 v55, v35, 12, v8
	v_cndmask_b32_e64 v8, 0, 1, vcc_lo
	v_cmp_ne_u32_e32 vcc_lo, 0, v10
	v_lshrrev_b32_e32 v46, 8, v21
	v_lshrrev_b32_e32 v48, 8, v23
	v_add_nc_u32_e32 v39, 0xfffffc10, v39
	v_sub_nc_u32_e32 v58, 0x3f1, v47
	v_sub_nc_u32_e32 v59, 0x3f1, v49
	v_and_or_b32 v16, 0xffe, v42, v16
	v_med3_i32 v42, v56, 0, 13
	v_and_or_b32 v18, 0xffe, v44, v18
	v_med3_i32 v44, v57, 0, 13
	v_or_b32_e32 v56, 0x1000, v10
	v_lshl_or_b32 v57, v37, 12, v10
	v_cndmask_b32_e64 v10, 0, 1, vcc_lo
	v_cmp_ne_u32_e32 vcc_lo, 0, v12
	v_add_nc_u32_e32 v41, 0xfffffc10, v41
	v_and_or_b32 v20, 0xffe, v46, v20
	v_med3_i32 v46, v58, 0, 13
	v_and_or_b32 v22, 0xffe, v48, v22
	v_med3_i32 v48, v59, 0, 13
	v_or_b32_e32 v58, 0x1000, v12
	v_lshl_or_b32 v59, v39, 12, v12
	v_cndmask_b32_e64 v12, 0, 1, vcc_lo
	v_cmp_ne_u32_e32 vcc_lo, 0, v14
	v_add_nc_u32_e32 v43, 0xfffffc10, v43
	v_or_b32_e32 v60, 0x1000, v14
	v_lshl_or_b32 v61, v41, 12, v14
	v_add_nc_u32_e32 v45, 0xfffffc10, v45
	v_cndmask_b32_e64 v14, 0, 1, vcc_lo
	v_cmp_ne_u32_e32 vcc_lo, 0, v16
	v_or_b32_e32 v62, 0x1000, v16
	v_lshl_or_b32 v63, v43, 12, v16
	v_add_nc_u32_e32 v47, 0xfffffc10, v47
	v_or_b32_e32 v64, 0x1000, v18
	v_cndmask_b32_e64 v16, 0, 1, vcc_lo
	v_cmp_ne_u32_e32 vcc_lo, 0, v18
	v_lshl_or_b32 v65, v45, 12, v18
	v_lshrrev_b32_e32 v71, v32, v52
	v_add_nc_u32_e32 v49, 0xfffffc10, v49
	v_or_b32_e32 v66, 0x1000, v20
	v_cndmask_b32_e64 v18, 0, 1, vcc_lo
	v_cmp_ne_u32_e32 vcc_lo, 0, v20
	v_lshl_or_b32 v67, v47, 12, v20
	v_lshrrev_b32_e32 v70, v30, v50
	v_lshrrev_b32_e32 v72, v34, v54
	v_lshlrev_b32_e32 v32, v32, v71
	v_cndmask_b32_e64 v20, 0, 1, vcc_lo
	v_cmp_ne_u32_e32 vcc_lo, 0, v22
	v_or_b32_e32 v68, 0x1000, v22
	v_lshl_or_b32 v69, v49, 12, v22
	v_lshrrev_b32_e32 v74, v38, v58
	v_lshlrev_b32_e32 v30, v30, v70
	v_cndmask_b32_e64 v22, 0, 1, vcc_lo
	v_cmp_ne_u32_e32 vcc_lo, v32, v52
	v_lshlrev_b32_e32 v34, v34, v72
	v_lshrrev_b32_e32 v75, v40, v60
	v_lshlrev_b32_e32 v38, v38, v74
	v_cmp_ne_u32_e64 s1, v30, v50
	v_cndmask_b32_e64 v50, 0, 1, vcc_lo
	v_cmp_ne_u32_e32 vcc_lo, v34, v54
	v_lshrrev_b32_e32 v73, v36, v56
	v_lshrrev_b32_e32 v32, v42, v62
	v_lshlrev_b32_e32 v40, v40, v75
	v_lshrrev_b32_e32 v52, v44, v64
	v_cndmask_b32_e64 v34, 0, 1, vcc_lo
	v_cmp_ne_u32_e32 vcc_lo, v38, v58
	v_lshlrev_b32_e32 v36, v36, v73
	v_lshlrev_b32_e32 v42, v42, v32
	;; [unrolled: 1-line block ×3, first 2 shown]
	v_cndmask_b32_e64 v30, 0, 1, s1
	v_cndmask_b32_e64 v38, 0, 1, vcc_lo
	v_cmp_ne_u32_e32 vcc_lo, v40, v60
	v_cmp_ne_u32_e64 s0, v36, v56
	v_lshrrev_b32_e32 v36, v46, v66
	v_lshrrev_b32_e32 v56, v48, v68
	v_or_b32_e32 v30, v70, v30
	v_cndmask_b32_e64 v40, 0, 1, vcc_lo
	v_cmp_ne_u32_e32 vcc_lo, v42, v62
	v_lshlrev_b32_e32 v46, v46, v36
	v_lshlrev_b32_e32 v48, v48, v56
	v_or_b32_e32 v50, v71, v50
	v_cndmask_b32_e64 v54, 0, 1, s0
	v_cndmask_b32_e64 v42, 0, 1, vcc_lo
	v_cmp_ne_u32_e32 vcc_lo, v44, v64
	v_or_b32_e32 v34, v72, v34
	v_or_b32_e32 v38, v74, v38
	;; [unrolled: 1-line block ×4, first 2 shown]
	v_cndmask_b32_e64 v44, 0, 1, vcc_lo
	v_cmp_ne_u32_e32 vcc_lo, v46, v66
	v_or_b32_e32 v40, v75, v40
	v_lshl_or_b32 v4, v4, 9, 0x7c00
	v_lshl_or_b32 v6, v6, 9, 0x7c00
	v_or_b32_e32 v42, v52, v44
	v_cndmask_b32_e64 v46, 0, 1, vcc_lo
	v_cmp_ne_u32_e32 vcc_lo, v48, v68
	v_lshl_or_b32 v8, v8, 9, 0x7c00
	v_lshl_or_b32 v10, v10, 9, 0x7c00
	;; [unrolled: 1-line block ×3, first 2 shown]
	v_or_b32_e32 v36, v36, v46
	v_cndmask_b32_e64 v48, 0, 1, vcc_lo
	v_cmp_gt_i32_e32 vcc_lo, 1, v31
	v_lshl_or_b32 v14, v14, 9, 0x7c00
	v_lshl_or_b32 v16, v16, 9, 0x7c00
	;; [unrolled: 1-line block ×3, first 2 shown]
	v_or_b32_e32 v44, v56, v48
	v_cndmask_b32_e32 v30, v51, v30, vcc_lo
	v_cmp_gt_i32_e32 vcc_lo, 1, v33
	v_lshl_or_b32 v20, v20, 9, 0x7c00
	v_lshrrev_b32_e32 v5, 16, v5
	v_lshrrev_b32_e32 v7, 16, v7
	;; [unrolled: 1-line block ×3, first 2 shown]
	v_cndmask_b32_e32 v46, v53, v50, vcc_lo
	v_cmp_gt_i32_e32 vcc_lo, 1, v35
	v_and_b32_e32 v50, 7, v30
	v_lshrrev_b32_e32 v30, 2, v30
	v_lshrrev_b32_e32 v13, 16, v13
	v_and_b32_e32 v51, 7, v46
	v_cndmask_b32_e32 v34, v55, v34, vcc_lo
	v_cmp_gt_i32_e32 vcc_lo, 1, v37
	v_cmp_eq_u32_e64 s0, 3, v50
	v_lshrrev_b32_e32 v46, 2, v46
	v_cmp_lt_i32_e64 s1, 5, v51
	v_and_b32_e32 v52, 7, v34
	v_cndmask_b32_e32 v48, v57, v54, vcc_lo
	v_cmp_gt_i32_e32 vcc_lo, 1, v39
	v_cmp_eq_u32_e64 s2, 3, v51
	v_lshrrev_b32_e32 v34, 2, v34
	v_cmp_lt_i32_e64 s3, 5, v52
	;; [unrolled: 6-line block ×7, first 2 shown]
	v_and_b32_e32 v58, 7, v36
	v_cndmask_b32_e32 v44, v69, v44, vcc_lo
	v_cmp_lt_i32_e32 vcc_lo, 5, v50
	v_cmp_eq_u32_e64 s14, 3, v57
	v_lshrrev_b32_e32 v36, 2, v36
	v_cmp_lt_i32_e64 s15, 5, v58
	v_and_b32_e32 v59, 7, v44
	s_or_b32 vcc_lo, s0, vcc_lo
	v_cmp_eq_u32_e64 s16, 3, v58
	v_add_co_ci_u32_e32 v30, vcc_lo, 0, v30, vcc_lo
	s_or_b32 vcc_lo, s2, s1
	v_cmp_lt_i32_e64 s17, 5, v59
	v_add_co_ci_u32_e32 v46, vcc_lo, 0, v46, vcc_lo
	s_or_b32 vcc_lo, s4, s3
	v_cmp_eq_u32_e64 s18, 3, v59
	v_add_co_ci_u32_e32 v34, vcc_lo, 0, v34, vcc_lo
	s_or_b32 vcc_lo, s6, s5
	v_lshrrev_b32_e32 v44, 2, v44
	v_add_co_ci_u32_e32 v48, vcc_lo, 0, v48, vcc_lo
	s_or_b32 vcc_lo, s8, s7
	v_lshrrev_b32_e32 v11, 16, v11
	;; [unrolled: 3-line block ×4, first 2 shown]
	v_add_co_ci_u32_e32 v32, vcc_lo, 0, v32, vcc_lo
	s_or_b32 vcc_lo, s14, s13
	v_lshl_or_b32 v22, v22, 9, 0x7c00
	v_add_co_ci_u32_e32 v42, vcc_lo, 0, v42, vcc_lo
	s_or_b32 vcc_lo, s16, s15
	v_lshrrev_b32_e32 v15, 16, v15
	v_add_co_ci_u32_e32 v36, vcc_lo, 0, v36, vcc_lo
	s_or_b32 vcc_lo, s18, s17
	v_lshrrev_b32_e32 v19, 16, v19
	v_add_co_ci_u32_e32 v44, vcc_lo, 0, v44, vcc_lo
	v_cmp_gt_i32_e32 vcc_lo, 31, v31
	v_lshrrev_b32_e32 v23, 16, v23
	v_cndmask_b32_e32 v30, 0x7c00, v30, vcc_lo
	v_cmp_gt_i32_e32 vcc_lo, 31, v33
	v_cndmask_b32_e32 v46, 0x7c00, v46, vcc_lo
	v_cmp_gt_i32_e32 vcc_lo, 31, v35
	;; [unrolled: 2-line block ×9, first 2 shown]
	v_cndmask_b32_e32 v44, 0x7c00, v44, vcc_lo
	v_cmp_eq_u32_e32 vcc_lo, 0x40f, v31
	v_cndmask_b32_e32 v4, v30, v4, vcc_lo
	v_cmp_eq_u32_e32 vcc_lo, 0x40f, v33
	v_and_or_b32 v4, 0x8000, v5, v4
	v_cndmask_b32_e32 v6, v46, v6, vcc_lo
	v_cmp_eq_u32_e32 vcc_lo, 0x40f, v35
	v_and_b32_e32 v4, 0xffff, v4
	v_and_or_b32 v5, 0x8000, v7, v6
	v_cndmask_b32_e32 v8, v34, v8, vcc_lo
	v_cmp_eq_u32_e32 vcc_lo, 0x40f, v37
	v_lshl_or_b32 v4, v5, 16, v4
	v_and_or_b32 v6, 0x8000, v9, v8
	v_cndmask_b32_e32 v10, v48, v10, vcc_lo
	v_cmp_eq_u32_e32 vcc_lo, 0x40f, v39
	v_and_b32_e32 v6, 0xffff, v6
	v_and_or_b32 v7, 0x8000, v11, v10
	v_cndmask_b32_e32 v12, v38, v12, vcc_lo
	v_cmp_eq_u32_e32 vcc_lo, 0x40f, v41
	v_lshl_or_b32 v5, v7, 16, v6
	;; [unrolled: 8-line block ×4, first 2 shown]
	v_and_or_b32 v12, 0x8000, v21, v20
	v_cndmask_b32_e32 v22, v44, v22, vcc_lo
	v_and_b32_e32 v12, 0xffff, v12
	v_and_or_b32 v13, 0x8000, v23, v22
	v_lshl_or_b32 v8, v13, 16, v12
	global_store_dword v[0:1], v4, off
	global_store_dword v[2:3], v5, off
	;; [unrolled: 1-line block ×5, first 2 shown]
.LBB0_15:
	s_endpgm
	.section	.rodata,"a",@progbits
	.p2align	6, 0x0
	.amdhsa_kernel bluestein_single_back_len1715_dim1_half_op_CI_CI
		.amdhsa_group_segment_fixed_size 6860
		.amdhsa_private_segment_fixed_size 0
		.amdhsa_kernarg_size 104
		.amdhsa_user_sgpr_count 6
		.amdhsa_user_sgpr_private_segment_buffer 1
		.amdhsa_user_sgpr_dispatch_ptr 0
		.amdhsa_user_sgpr_queue_ptr 0
		.amdhsa_user_sgpr_kernarg_segment_ptr 1
		.amdhsa_user_sgpr_dispatch_id 0
		.amdhsa_user_sgpr_flat_scratch_init 0
		.amdhsa_user_sgpr_private_segment_size 0
		.amdhsa_wavefront_size32 1
		.amdhsa_uses_dynamic_stack 0
		.amdhsa_system_sgpr_private_segment_wavefront_offset 0
		.amdhsa_system_sgpr_workgroup_id_x 1
		.amdhsa_system_sgpr_workgroup_id_y 0
		.amdhsa_system_sgpr_workgroup_id_z 0
		.amdhsa_system_sgpr_workgroup_info 0
		.amdhsa_system_vgpr_workitem_id 0
		.amdhsa_next_free_vgpr 76
		.amdhsa_next_free_sgpr 19
		.amdhsa_reserve_vcc 1
		.amdhsa_reserve_flat_scratch 0
		.amdhsa_float_round_mode_32 0
		.amdhsa_float_round_mode_16_64 0
		.amdhsa_float_denorm_mode_32 3
		.amdhsa_float_denorm_mode_16_64 3
		.amdhsa_dx10_clamp 1
		.amdhsa_ieee_mode 1
		.amdhsa_fp16_overflow 0
		.amdhsa_workgroup_processor_mode 1
		.amdhsa_memory_ordered 1
		.amdhsa_forward_progress 0
		.amdhsa_shared_vgpr_count 0
		.amdhsa_exception_fp_ieee_invalid_op 0
		.amdhsa_exception_fp_denorm_src 0
		.amdhsa_exception_fp_ieee_div_zero 0
		.amdhsa_exception_fp_ieee_overflow 0
		.amdhsa_exception_fp_ieee_underflow 0
		.amdhsa_exception_fp_ieee_inexact 0
		.amdhsa_exception_int_div_zero 0
	.end_amdhsa_kernel
	.text
.Lfunc_end0:
	.size	bluestein_single_back_len1715_dim1_half_op_CI_CI, .Lfunc_end0-bluestein_single_back_len1715_dim1_half_op_CI_CI
                                        ; -- End function
	.section	.AMDGPU.csdata,"",@progbits
; Kernel info:
; codeLenInByte = 15160
; NumSgprs: 21
; NumVgprs: 76
; ScratchSize: 0
; MemoryBound: 0
; FloatMode: 240
; IeeeMode: 1
; LDSByteSize: 6860 bytes/workgroup (compile time only)
; SGPRBlocks: 2
; VGPRBlocks: 9
; NumSGPRsForWavesPerEU: 21
; NumVGPRsForWavesPerEU: 76
; Occupancy: 12
; WaveLimiterHint : 1
; COMPUTE_PGM_RSRC2:SCRATCH_EN: 0
; COMPUTE_PGM_RSRC2:USER_SGPR: 6
; COMPUTE_PGM_RSRC2:TRAP_HANDLER: 0
; COMPUTE_PGM_RSRC2:TGID_X_EN: 1
; COMPUTE_PGM_RSRC2:TGID_Y_EN: 0
; COMPUTE_PGM_RSRC2:TGID_Z_EN: 0
; COMPUTE_PGM_RSRC2:TIDIG_COMP_CNT: 0
	.text
	.p2alignl 6, 3214868480
	.fill 48, 4, 3214868480
	.type	__hip_cuid_b8aa2df67c3fb94a,@object ; @__hip_cuid_b8aa2df67c3fb94a
	.section	.bss,"aw",@nobits
	.globl	__hip_cuid_b8aa2df67c3fb94a
__hip_cuid_b8aa2df67c3fb94a:
	.byte	0                               ; 0x0
	.size	__hip_cuid_b8aa2df67c3fb94a, 1

	.ident	"AMD clang version 19.0.0git (https://github.com/RadeonOpenCompute/llvm-project roc-6.4.0 25133 c7fe45cf4b819c5991fe208aaa96edf142730f1d)"
	.section	".note.GNU-stack","",@progbits
	.addrsig
	.addrsig_sym __hip_cuid_b8aa2df67c3fb94a
	.amdgpu_metadata
---
amdhsa.kernels:
  - .args:
      - .actual_access:  read_only
        .address_space:  global
        .offset:         0
        .size:           8
        .value_kind:     global_buffer
      - .actual_access:  read_only
        .address_space:  global
        .offset:         8
        .size:           8
        .value_kind:     global_buffer
      - .actual_access:  read_only
        .address_space:  global
        .offset:         16
        .size:           8
        .value_kind:     global_buffer
      - .actual_access:  read_only
        .address_space:  global
        .offset:         24
        .size:           8
        .value_kind:     global_buffer
      - .actual_access:  read_only
        .address_space:  global
        .offset:         32
        .size:           8
        .value_kind:     global_buffer
      - .offset:         40
        .size:           8
        .value_kind:     by_value
      - .address_space:  global
        .offset:         48
        .size:           8
        .value_kind:     global_buffer
      - .address_space:  global
        .offset:         56
        .size:           8
        .value_kind:     global_buffer
      - .address_space:  global
        .offset:         64
        .size:           8
        .value_kind:     global_buffer
      - .address_space:  global
        .offset:         72
        .size:           8
        .value_kind:     global_buffer
      - .offset:         80
        .size:           4
        .value_kind:     by_value
      - .address_space:  global
        .offset:         88
        .size:           8
        .value_kind:     global_buffer
      - .address_space:  global
        .offset:         96
        .size:           8
        .value_kind:     global_buffer
    .group_segment_fixed_size: 6860
    .kernarg_segment_align: 8
    .kernarg_segment_size: 104
    .language:       OpenCL C
    .language_version:
      - 2
      - 0
    .max_flat_workgroup_size: 245
    .name:           bluestein_single_back_len1715_dim1_half_op_CI_CI
    .private_segment_fixed_size: 0
    .sgpr_count:     21
    .sgpr_spill_count: 0
    .symbol:         bluestein_single_back_len1715_dim1_half_op_CI_CI.kd
    .uniform_work_group_size: 1
    .uses_dynamic_stack: false
    .vgpr_count:     76
    .vgpr_spill_count: 0
    .wavefront_size: 32
    .workgroup_processor_mode: 1
amdhsa.target:   amdgcn-amd-amdhsa--gfx1030
amdhsa.version:
  - 1
  - 2
...

	.end_amdgpu_metadata
